;; amdgpu-corpus repo=ROCm/rocFFT kind=compiled arch=gfx1030 opt=O3
	.text
	.amdgcn_target "amdgcn-amd-amdhsa--gfx1030"
	.amdhsa_code_object_version 6
	.protected	fft_rtc_fwd_len289_factors_17_17_wgs_119_tpt_17_dp_op_CI_CI_sbcc_twdbase8_2step ; -- Begin function fft_rtc_fwd_len289_factors_17_17_wgs_119_tpt_17_dp_op_CI_CI_sbcc_twdbase8_2step
	.globl	fft_rtc_fwd_len289_factors_17_17_wgs_119_tpt_17_dp_op_CI_CI_sbcc_twdbase8_2step
	.p2align	8
	.type	fft_rtc_fwd_len289_factors_17_17_wgs_119_tpt_17_dp_op_CI_CI_sbcc_twdbase8_2step,@function
fft_rtc_fwd_len289_factors_17_17_wgs_119_tpt_17_dp_op_CI_CI_sbcc_twdbase8_2step: ; @fft_rtc_fwd_len289_factors_17_17_wgs_119_tpt_17_dp_op_CI_CI_sbcc_twdbase8_2step
; %bb.0:
	s_clause 0x1
	s_load_dwordx4 s[20:23], s[4:5], 0x18
	s_load_dwordx2 s[30:31], s[4:5], 0x28
	s_mov_b64 s[24:25], 0
	s_waitcnt lgkmcnt(0)
	s_load_dwordx2 s[28:29], s[20:21], 0x8
	s_waitcnt lgkmcnt(0)
	s_add_u32 s0, s28, -1
	s_addc_u32 s1, s29, -1
	s_add_u32 s2, 0, 0x92481000
	s_addc_u32 s3, 0, 0x64
	s_mul_hi_u32 s8, s2, -7
	s_add_i32 s3, s3, 0x249248c0
	s_sub_i32 s8, s8, s2
	s_mul_i32 s10, s3, -7
	s_mul_i32 s7, s2, -7
	s_add_i32 s8, s8, s10
	s_mul_hi_u32 s9, s2, s7
	s_mul_i32 s12, s2, s8
	s_mul_hi_u32 s10, s2, s8
	s_mul_hi_u32 s11, s3, s7
	s_mul_i32 s7, s3, s7
	s_add_u32 s9, s9, s12
	s_addc_u32 s10, 0, s10
	s_mul_hi_u32 s13, s3, s8
	s_add_u32 s7, s9, s7
	s_mul_i32 s8, s3, s8
	s_addc_u32 s7, s10, s11
	s_addc_u32 s9, s13, 0
	s_add_u32 s7, s7, s8
	v_add_co_u32 v1, s2, s2, s7
	s_addc_u32 s7, 0, s9
	s_cmp_lg_u32 s2, 0
	s_addc_u32 s2, s3, s7
	v_readfirstlane_b32 s3, v1
	s_mul_i32 s8, s0, s2
	s_mul_hi_u32 s7, s0, s2
	s_mul_hi_u32 s9, s1, s2
	s_mul_i32 s2, s1, s2
	s_mul_hi_u32 s10, s0, s3
	s_mul_hi_u32 s11, s1, s3
	s_mul_i32 s3, s1, s3
	s_add_u32 s8, s10, s8
	s_addc_u32 s7, 0, s7
	s_add_u32 s3, s8, s3
	s_addc_u32 s3, s7, s11
	s_addc_u32 s7, s9, 0
	s_add_u32 s2, s3, s2
	s_addc_u32 s3, 0, s7
	s_mul_i32 s8, s2, 7
	s_add_u32 s7, s2, 1
	v_sub_co_u32 v1, s0, s0, s8
	s_mul_hi_u32 s8, s2, 7
	s_addc_u32 s9, s3, 0
	s_mul_i32 s10, s3, 7
	v_sub_co_u32 v2, s11, v1, 7
	s_add_u32 s12, s2, 2
	s_addc_u32 s13, s3, 0
	s_add_i32 s8, s8, s10
	s_cmp_lg_u32 s0, 0
	v_readfirstlane_b32 s0, v2
	s_subb_u32 s1, s1, s8
	s_cmp_lg_u32 s11, 0
	s_subb_u32 s8, s1, 0
	s_cmp_gt_u32 s0, 6
	s_cselect_b32 s0, -1, 0
	s_cmp_eq_u32 s8, 0
	v_readfirstlane_b32 s8, v1
	s_cselect_b32 s0, s0, -1
	s_cmp_lg_u32 s0, 0
	s_cselect_b32 s0, s12, s7
	s_cselect_b32 s9, s13, s9
	s_cmp_gt_u32 s8, 6
	s_cselect_b32 s7, -1, 0
	s_cmp_eq_u32 s1, 0
	s_cselect_b32 s1, s7, -1
	s_mov_b32 s7, 0
	s_cmp_lg_u32 s1, 0
	s_cselect_b32 s0, s0, s2
	s_cselect_b32 s1, s9, s3
	s_add_u32 s36, s0, 1
	s_addc_u32 s37, s1, 0
	v_cmp_lt_u64_e64 s0, s[6:7], s[36:37]
	s_and_b32 vcc_lo, exec_lo, s0
	s_cbranch_vccnz .LBB0_2
; %bb.1:
	v_cvt_f32_u32_e32 v1, s36
	s_sub_i32 s1, 0, s36
	s_mov_b32 s25, s7
	v_rcp_iflag_f32_e32 v1, v1
	v_mul_f32_e32 v1, 0x4f7ffffe, v1
	v_cvt_u32_f32_e32 v1, v1
	v_readfirstlane_b32 s0, v1
	s_mul_i32 s1, s1, s0
	s_mul_hi_u32 s1, s0, s1
	s_add_i32 s0, s0, s1
	s_mul_hi_u32 s0, s6, s0
	s_mul_i32 s1, s0, s36
	s_add_i32 s2, s0, 1
	s_sub_i32 s1, s6, s1
	s_sub_i32 s3, s1, s36
	s_cmp_ge_u32 s1, s36
	s_cselect_b32 s0, s2, s0
	s_cselect_b32 s1, s3, s1
	s_add_i32 s2, s0, 1
	s_cmp_ge_u32 s1, s36
	s_cselect_b32 s24, s2, s0
.LBB0_2:
	s_load_dwordx4 s[16:19], s[22:23], 0x0
	s_load_dwordx4 s[8:11], s[30:31], 0x0
	s_clause 0x1
	s_load_dwordx4 s[12:15], s[4:5], 0x8
	s_load_dwordx2 s[26:27], s[4:5], 0x0
	s_mul_i32 s0, s24, s37
	s_mul_hi_u32 s1, s24, s36
	s_mul_i32 s2, s24, s36
	s_add_i32 s1, s1, s0
	s_sub_u32 s50, s6, s2
	s_subb_u32 s0, 0, s1
	s_mul_hi_u32 s33, s50, 7
	s_mul_i32 s34, s0, 7
	s_load_dwordx4 s[0:3], s[4:5], 0x60
	s_add_i32 s33, s33, s34
	s_mul_i32 s50, s50, 7
	s_waitcnt lgkmcnt(0)
	s_mul_i32 s4, s18, s33
	s_mul_hi_u32 s5, s18, s50
	v_cmp_lt_u64_e64 s40, s[14:15], 3
	s_mul_i32 s35, s10, s33
	s_mul_hi_u32 s38, s10, s50
	s_mul_i32 s34, s19, s50
	s_mul_i32 s39, s11, s50
	s_add_i32 s4, s5, s4
	s_add_i32 s5, s38, s35
	;; [unrolled: 1-line block ×3, first 2 shown]
	s_mul_i32 s34, s18, s50
	s_add_i32 s5, s5, s39
	s_and_b32 vcc_lo, exec_lo, s40
	s_mul_i32 s4, s10, s50
	s_cbranch_vccnz .LBB0_12
; %bb.3:
	s_add_u32 s38, s30, 16
	s_addc_u32 s39, s31, 0
	s_add_u32 s40, s22, 16
	s_addc_u32 s41, s23, 0
	;; [unrolled: 2-line block ×3, first 2 shown]
	s_mov_b64 s[42:43], 2
	s_mov_b32 s44, 0
.LBB0_4:                                ; =>This Inner Loop Header: Depth=1
	s_load_dwordx2 s[46:47], s[20:21], 0x0
	s_waitcnt lgkmcnt(0)
	s_or_b64 s[48:49], s[24:25], s[46:47]
	s_mov_b32 s45, s49
                                        ; implicit-def: $sgpr48_sgpr49
	s_cmp_lg_u64 s[44:45], 0
	s_mov_b32 s45, -1
	s_cbranch_scc0 .LBB0_6
; %bb.5:                                ;   in Loop: Header=BB0_4 Depth=1
	v_cvt_f32_u32_e32 v1, s46
	v_cvt_f32_u32_e32 v2, s47
	s_sub_u32 s49, 0, s46
	s_subb_u32 s51, 0, s47
	v_fmac_f32_e32 v1, 0x4f800000, v2
	v_rcp_f32_e32 v1, v1
	v_mul_f32_e32 v1, 0x5f7ffffc, v1
	v_mul_f32_e32 v2, 0x2f800000, v1
	v_trunc_f32_e32 v2, v2
	v_fmac_f32_e32 v1, 0xcf800000, v2
	v_cvt_u32_f32_e32 v2, v2
	v_cvt_u32_f32_e32 v1, v1
	v_readfirstlane_b32 s45, v2
	v_readfirstlane_b32 s48, v1
	s_mul_i32 s52, s49, s45
	s_mul_hi_u32 s54, s49, s48
	s_mul_i32 s53, s51, s48
	s_add_i32 s52, s54, s52
	s_mul_i32 s55, s49, s48
	s_add_i32 s52, s52, s53
	s_mul_hi_u32 s54, s48, s55
	s_mul_hi_u32 s56, s45, s55
	s_mul_i32 s53, s45, s55
	s_mul_hi_u32 s55, s48, s52
	s_mul_i32 s48, s48, s52
	s_mul_hi_u32 s57, s45, s52
	s_add_u32 s48, s54, s48
	s_addc_u32 s54, 0, s55
	s_add_u32 s48, s48, s53
	s_mul_i32 s52, s45, s52
	s_addc_u32 s48, s54, s56
	s_addc_u32 s53, s57, 0
	s_add_u32 s48, s48, s52
	s_addc_u32 s52, 0, s53
	v_add_co_u32 v1, s48, v1, s48
	s_cmp_lg_u32 s48, 0
	s_addc_u32 s45, s45, s52
	v_readfirstlane_b32 s48, v1
	s_mul_i32 s52, s49, s45
	s_mul_hi_u32 s53, s49, s48
	s_mul_i32 s51, s51, s48
	s_add_i32 s52, s53, s52
	s_mul_i32 s49, s49, s48
	s_add_i32 s52, s52, s51
	s_mul_hi_u32 s53, s45, s49
	s_mul_i32 s54, s45, s49
	s_mul_hi_u32 s49, s48, s49
	s_mul_hi_u32 s55, s48, s52
	s_mul_i32 s48, s48, s52
	s_mul_hi_u32 s51, s45, s52
	s_add_u32 s48, s49, s48
	s_addc_u32 s49, 0, s55
	s_add_u32 s48, s48, s54
	s_mul_i32 s52, s45, s52
	s_addc_u32 s48, s49, s53
	s_addc_u32 s49, s51, 0
	s_add_u32 s48, s48, s52
	s_addc_u32 s49, 0, s49
	v_add_co_u32 v1, s48, v1, s48
	s_cmp_lg_u32 s48, 0
	s_addc_u32 s45, s45, s49
	v_readfirstlane_b32 s48, v1
	s_mul_i32 s51, s24, s45
	s_mul_hi_u32 s49, s24, s45
	s_mul_hi_u32 s52, s25, s45
	s_mul_i32 s45, s25, s45
	s_mul_hi_u32 s53, s24, s48
	s_mul_hi_u32 s54, s25, s48
	s_mul_i32 s48, s25, s48
	s_add_u32 s51, s53, s51
	s_addc_u32 s49, 0, s49
	s_add_u32 s48, s51, s48
	s_addc_u32 s48, s49, s54
	s_addc_u32 s49, s52, 0
	s_add_u32 s48, s48, s45
	s_addc_u32 s49, 0, s49
	s_mul_hi_u32 s45, s46, s48
	s_mul_i32 s52, s46, s49
	s_mul_i32 s53, s46, s48
	s_add_i32 s45, s45, s52
	v_sub_co_u32 v1, s52, s24, s53
	s_mul_i32 s51, s47, s48
	s_add_i32 s45, s45, s51
	v_sub_co_u32 v2, s53, v1, s46
	s_sub_i32 s51, s25, s45
	s_cmp_lg_u32 s52, 0
	s_subb_u32 s51, s51, s47
	s_cmp_lg_u32 s53, 0
	v_readfirstlane_b32 s53, v2
	s_subb_u32 s51, s51, 0
	s_cmp_ge_u32 s51, s47
	s_cselect_b32 s54, -1, 0
	s_cmp_ge_u32 s53, s46
	s_cselect_b32 s53, -1, 0
	s_cmp_eq_u32 s51, s47
	s_cselect_b32 s51, s53, s54
	s_add_u32 s53, s48, 1
	s_addc_u32 s54, s49, 0
	s_add_u32 s55, s48, 2
	s_addc_u32 s56, s49, 0
	s_cmp_lg_u32 s51, 0
	s_cselect_b32 s51, s55, s53
	s_cselect_b32 s53, s56, s54
	s_cmp_lg_u32 s52, 0
	v_readfirstlane_b32 s52, v1
	s_subb_u32 s45, s25, s45
	s_cmp_ge_u32 s45, s47
	s_cselect_b32 s54, -1, 0
	s_cmp_ge_u32 s52, s46
	s_cselect_b32 s52, -1, 0
	s_cmp_eq_u32 s45, s47
	s_cselect_b32 s45, s52, s54
	s_cmp_lg_u32 s45, 0
	s_mov_b32 s45, 0
	s_cselect_b32 s49, s53, s49
	s_cselect_b32 s48, s51, s48
.LBB0_6:                                ;   in Loop: Header=BB0_4 Depth=1
	s_andn2_b32 vcc_lo, exec_lo, s45
	s_cbranch_vccnz .LBB0_8
; %bb.7:                                ;   in Loop: Header=BB0_4 Depth=1
	v_cvt_f32_u32_e32 v1, s46
	s_sub_i32 s48, 0, s46
	v_rcp_iflag_f32_e32 v1, v1
	v_mul_f32_e32 v1, 0x4f7ffffe, v1
	v_cvt_u32_f32_e32 v1, v1
	v_readfirstlane_b32 s45, v1
	s_mul_i32 s48, s48, s45
	s_mul_hi_u32 s48, s45, s48
	s_add_i32 s45, s45, s48
	s_mul_hi_u32 s45, s24, s45
	s_mul_i32 s48, s45, s46
	s_add_i32 s49, s45, 1
	s_sub_i32 s48, s24, s48
	s_sub_i32 s51, s48, s46
	s_cmp_ge_u32 s48, s46
	s_cselect_b32 s45, s49, s45
	s_cselect_b32 s48, s51, s48
	s_add_i32 s49, s45, 1
	s_cmp_ge_u32 s48, s46
	s_cselect_b32 s48, s49, s45
	s_mov_b32 s49, s44
.LBB0_8:                                ;   in Loop: Header=BB0_4 Depth=1
	s_load_dwordx2 s[52:53], s[40:41], 0x0
	s_load_dwordx2 s[54:55], s[38:39], 0x0
	s_mul_i32 s37, s46, s37
	s_mul_hi_u32 s45, s46, s36
	s_mul_i32 s51, s47, s36
	s_mul_i32 s47, s48, s47
	s_mul_hi_u32 s56, s48, s46
	s_mul_i32 s57, s49, s46
	s_add_i32 s37, s45, s37
	s_add_i32 s45, s56, s47
	s_mul_i32 s58, s48, s46
	s_add_i32 s37, s37, s51
	s_add_i32 s45, s45, s57
	s_sub_u32 s24, s24, s58
	s_subb_u32 s25, s25, s45
	s_mul_i32 s36, s46, s36
	s_waitcnt lgkmcnt(0)
	s_mul_i32 s45, s52, s25
	s_mul_hi_u32 s47, s52, s24
	s_mul_i32 s51, s53, s24
	s_add_i32 s45, s47, s45
	s_mul_i32 s52, s52, s24
	s_mul_i32 s25, s54, s25
	s_mul_hi_u32 s47, s54, s24
	s_add_i32 s45, s45, s51
	s_add_u32 s34, s52, s34
	s_addc_u32 s35, s45, s35
	s_add_i32 s25, s47, s25
	s_mul_i32 s45, s55, s24
	s_mul_i32 s24, s54, s24
	s_add_i32 s25, s25, s45
	s_add_u32 s4, s24, s4
	s_addc_u32 s5, s25, s5
	s_add_u32 s42, s42, 1
	s_addc_u32 s43, s43, 0
	s_add_u32 s38, s38, 8
	v_cmp_ge_u64_e64 s24, s[42:43], s[14:15]
	s_addc_u32 s39, s39, 0
	s_add_u32 s40, s40, 8
	s_addc_u32 s41, s41, 0
	s_add_u32 s20, s20, 8
	s_addc_u32 s21, s21, 0
	s_and_b32 vcc_lo, exec_lo, s24
	s_cbranch_vccnz .LBB0_10
; %bb.9:                                ;   in Loop: Header=BB0_4 Depth=1
	s_mov_b64 s[24:25], s[48:49]
	s_branch .LBB0_4
.LBB0_10:
	v_cmp_lt_u64_e64 s7, s[6:7], s[36:37]
	s_mov_b64 s[24:25], 0
	s_and_b32 vcc_lo, exec_lo, s7
	s_cbranch_vccnz .LBB0_12
; %bb.11:
	v_cvt_f32_u32_e32 v1, s36
	s_sub_i32 s20, 0, s36
	v_rcp_iflag_f32_e32 v1, v1
	v_mul_f32_e32 v1, 0x4f7ffffe, v1
	v_cvt_u32_f32_e32 v1, v1
	v_readfirstlane_b32 s7, v1
	s_mul_i32 s20, s20, s7
	s_mul_hi_u32 s20, s7, s20
	s_add_i32 s7, s7, s20
	s_mul_hi_u32 s7, s6, s7
	s_mul_i32 s20, s7, s36
	s_sub_i32 s6, s6, s20
	s_add_i32 s20, s7, 1
	s_sub_i32 s21, s6, s36
	s_cmp_ge_u32 s6, s36
	s_cselect_b32 s7, s20, s7
	s_cselect_b32 s6, s21, s6
	s_add_i32 s20, s7, 1
	s_cmp_ge_u32 s6, s36
	s_cselect_b32 s24, s20, s7
.LBB0_12:
	v_mul_u32_u24_e32 v1, 0x2493, v0
	s_lshl_b64 s[14:15], s[14:15], 3
	s_add_u32 s6, s30, s14
	s_addc_u32 s7, s31, s15
	v_lshrrev_b32_e32 v99, 16, v1
	s_add_u32 s20, s50, 7
	s_addc_u32 s21, s33, 0
	v_cmp_le_u64_e64 s20, s[20:21], s[28:29]
	v_mul_lo_u16 v1, v99, 7
	v_lshlrev_b32_e32 v101, 4, v99
	v_add_nc_u32_e32 v100, 17, v99
	v_add_nc_u32_e32 v98, 34, v99
	;; [unrolled: 1-line block ×3, first 2 shown]
	v_sub_nc_u16 v1, v0, v1
	v_add_nc_u32_e32 v95, 0x44, v99
	v_add_nc_u32_e32 v96, 0x55, v99
	v_add_nc_u32_e32 v94, 0x66, v99
	v_add_nc_u32_e32 v93, 0x77, v99
	v_and_b32_e32 v102, 0xffff, v1
	v_add_nc_u32_e32 v92, 0x88, v99
	v_add_nc_u32_e32 v91, 0x99, v99
	;; [unrolled: 1-line block ×4, first 2 shown]
	v_add_co_u32 v1, s21, s50, v102
	v_add_co_ci_u32_e64 v2, null, s33, 0, s21
	v_add_nc_u32_e32 v88, 0xcc, v99
	v_mul_u32_u24_e32 v103, 0x1210, v102
	v_add_nc_u32_e32 v87, 0xdd, v99
	v_cmp_gt_u64_e32 vcc_lo, s[28:29], v[1:2]
	v_add_nc_u32_e32 v85, 0xee, v99
	v_add_nc_u32_e32 v86, 0xff, v99
	v_add_nc_u32_e32 v84, 0x110, v99
	s_or_b32 s25, s20, vcc_lo
	s_and_saveexec_b32 s20, s25
	s_cbranch_execz .LBB0_14
; %bb.13:
	s_add_u32 s14, s22, s14
	s_addc_u32 s15, s23, s15
	v_mad_u64_u32 v[1:2], null, s18, v102, 0
	s_load_dwordx2 s[14:15], s[14:15], 0x0
	v_mad_u64_u32 v[3:4], null, s16, v99, 0
	v_mad_u64_u32 v[11:12], null, s16, v97, 0
	;; [unrolled: 1-line block ×9, first 2 shown]
	v_mov_b32_e32 v2, v5
	s_waitcnt lgkmcnt(0)
	s_mul_i32 s15, s15, s24
	s_mul_hi_u32 s18, s14, s24
	s_mul_i32 s14, s14, s24
	s_add_i32 s15, s18, s15
	v_lshlrev_b64 v[1:2], 4, v[1:2]
	s_lshl_b64 s[14:15], s[14:15], 4
	v_mov_b32_e32 v4, v8
	s_add_u32 s14, s0, s14
	s_addc_u32 s15, s1, s15
	s_lshl_b64 s[0:1], s[34:35], 4
	v_mad_u64_u32 v[9:10], null, s16, v98, 0
	s_add_u32 s0, s14, s0
	v_lshlrev_b64 v[3:4], 4, v[3:4]
	v_add_co_u32 v65, vcc_lo, s0, v1
	s_addc_u32 s1, s15, s1
	v_mad_u64_u32 v[21:22], null, s16, v92, 0
	v_add_co_ci_u32_e32 v66, vcc_lo, s1, v2, vcc_lo
	v_add_co_u32 v1, vcc_lo, v65, v3
	v_mov_b32_e32 v3, v7
	v_add_co_ci_u32_e32 v2, vcc_lo, v66, v4, vcc_lo
	v_mov_b32_e32 v5, v10
	v_mov_b32_e32 v10, v14
	v_mad_u64_u32 v[3:4], null, s17, v100, v[3:4]
	v_mov_b32_e32 v14, v16
	v_mov_b32_e32 v16, v18
	v_mov_b32_e32 v18, v20
	v_mad_u64_u32 v[23:24], null, s16, v91, 0
	v_mov_b32_e32 v20, v22
	v_mov_b32_e32 v7, v3
	v_mad_u64_u32 v[25:26], null, s16, v90, 0
	v_mad_u64_u32 v[27:28], null, s16, v89, 0
	v_lshlrev_b64 v[3:4], 4, v[6:7]
	v_mov_b32_e32 v6, v12
	v_mad_u64_u32 v[29:30], null, s16, v88, 0
	v_mov_b32_e32 v22, v24
	v_mov_b32_e32 v24, v26
	v_add_co_u32 v7, vcc_lo, v65, v3
	v_mad_u64_u32 v[31:32], null, s17, v98, v[5:6]
	v_mad_u64_u32 v[37:38], null, s16, v85, 0
	;; [unrolled: 1-line block ×4, first 2 shown]
	v_mov_b32_e32 v10, v31
	v_mov_b32_e32 v26, v28
	v_mov_b32_e32 v28, v30
	v_mad_u64_u32 v[39:40], null, s16, v86, 0
	v_mov_b32_e32 v12, v32
	v_mad_u64_u32 v[31:32], null, s17, v96, v[14:15]
	v_mov_b32_e32 v14, v33
	v_mad_u64_u32 v[32:33], null, s17, v94, v[16:17]
	v_mad_u64_u32 v[33:34], null, s17, v93, v[18:19]
	;; [unrolled: 1-line block ×4, first 2 shown]
	v_mov_b32_e32 v16, v31
	v_mov_b32_e32 v18, v32
	v_mad_u64_u32 v[31:32], null, s17, v91, v[22:23]
	v_mov_b32_e32 v20, v33
	v_mad_u64_u32 v[32:33], null, s17, v90, v[24:25]
	v_mov_b32_e32 v24, v36
	v_mov_b32_e32 v22, v34
	v_mad_u64_u32 v[33:34], null, s17, v89, v[26:27]
	v_mov_b32_e32 v26, v38
	v_mad_u64_u32 v[43:44], null, s17, v88, v[28:29]
	v_mad_u64_u32 v[44:45], null, s17, v87, v[24:25]
	;; [unrolled: 1-line block ×4, first 2 shown]
	v_lshlrev_b64 v[9:10], 4, v[9:10]
	v_lshlrev_b64 v[11:12], 4, v[11:12]
	v_mov_b32_e32 v24, v40
	v_mov_b32_e32 v36, v44
	v_add_co_ci_u32_e32 v8, vcc_lo, v66, v4, vcc_lo
	v_lshlrev_b64 v[13:14], 4, v[13:14]
	v_add_co_u32 v9, vcc_lo, v65, v9
	v_mov_b32_e32 v28, v42
	v_mov_b32_e32 v38, v45
	v_add_co_ci_u32_e32 v10, vcc_lo, v66, v10, vcc_lo
	v_mad_u64_u32 v[46:47], null, s17, v86, v[24:25]
	v_mov_b32_e32 v24, v31
	v_mov_b32_e32 v26, v32
	v_lshlrev_b64 v[15:16], 4, v[15:16]
	v_lshlrev_b64 v[31:32], 4, v[35:36]
	v_add_co_u32 v35, vcc_lo, v65, v11
	v_add_co_ci_u32_e32 v36, vcc_lo, v66, v12, vcc_lo
	v_mad_u64_u32 v[47:48], null, s17, v84, v[28:29]
	v_mov_b32_e32 v28, v33
	v_lshlrev_b64 v[17:18], 4, v[17:18]
	v_lshlrev_b64 v[33:34], 4, v[37:38]
	v_add_co_u32 v37, vcc_lo, v65, v13
	v_add_co_ci_u32_e32 v38, vcc_lo, v66, v14, vcc_lo
	v_mov_b32_e32 v30, v43
	v_lshlrev_b64 v[19:20], 4, v[19:20]
	v_add_co_u32 v43, vcc_lo, v65, v15
	v_add_co_ci_u32_e32 v44, vcc_lo, v66, v16, vcc_lo
	v_lshlrev_b64 v[21:22], 4, v[21:22]
	v_add_co_u32 v45, vcc_lo, v65, v17
	v_mov_b32_e32 v40, v46
	v_add_co_ci_u32_e32 v46, vcc_lo, v66, v18, vcc_lo
	v_mov_b32_e32 v42, v47
	v_lshlrev_b64 v[23:24], 4, v[23:24]
	v_add_co_u32 v47, vcc_lo, v65, v19
	v_add_co_ci_u32_e32 v48, vcc_lo, v66, v20, vcc_lo
	v_lshlrev_b64 v[25:26], 4, v[25:26]
	v_add_co_u32 v49, vcc_lo, v65, v21
	v_add_co_ci_u32_e32 v50, vcc_lo, v66, v22, vcc_lo
	;; [unrolled: 3-line block ×4, first 2 shown]
	v_add_co_u32 v55, vcc_lo, v65, v27
	v_add_co_ci_u32_e32 v56, vcc_lo, v66, v28, vcc_lo
	v_add_co_u32 v57, vcc_lo, v65, v29
	v_add_co_ci_u32_e32 v58, vcc_lo, v66, v30, vcc_lo
	v_add_co_u32 v59, vcc_lo, v65, v31
	v_lshlrev_b64 v[17:18], 4, v[39:40]
	v_add_co_ci_u32_e32 v60, vcc_lo, v66, v32, vcc_lo
	v_add_co_u32 v61, vcc_lo, v65, v33
	v_lshlrev_b64 v[25:26], 4, v[41:42]
	v_add_co_ci_u32_e32 v62, vcc_lo, v66, v34, vcc_lo
	v_add_co_u32 v63, vcc_lo, v65, v17
	v_add_co_ci_u32_e32 v64, vcc_lo, v66, v18, vcc_lo
	v_add_co_u32 v65, vcc_lo, v65, v25
	v_add_co_ci_u32_e32 v66, vcc_lo, v66, v26, vcc_lo
	s_clause 0x10
	global_load_dwordx4 v[1:4], v[1:2], off
	global_load_dwordx4 v[5:8], v[7:8], off
	;; [unrolled: 1-line block ×17, first 2 shown]
	v_add3_u32 v69, 0, v103, v101
	s_waitcnt vmcnt(16)
	ds_write_b128 v69, v[1:4]
	s_waitcnt vmcnt(15)
	ds_write_b128 v69, v[5:8] offset:272
	s_waitcnt vmcnt(14)
	ds_write_b128 v69, v[9:12] offset:544
	;; [unrolled: 2-line block ×16, first 2 shown]
.LBB0_14:
	s_or_b32 exec_lo, exec_lo, s20
	v_mov_b32_e32 v1, 0xf10
	s_load_dwordx2 s[6:7], s[6:7], 0x0
	s_waitcnt lgkmcnt(0)
	s_barrier
	buffer_gl0_inv
	v_mul_u32_u24_sdwa v1, v0, v1 dst_sel:DWORD dst_unused:UNUSED_PAD src0_sel:WORD_0 src1_sel:DWORD
	s_mov_b32 s34, 0x5d8e7cdc
	s_mov_b32 s48, 0x2a9d6da3
	;; [unrolled: 1-line block ×4, first 2 shown]
	v_lshrrev_b32_e32 v5, 16, v1
	s_mov_b32 s22, 0x923c349f
	s_mov_b32 s30, 0x6c9a05f6
	s_mov_b32 s38, 0x4363dd80
	s_mov_b32 s42, 0xacd6c6b4
	v_add_co_u32 v105, s0, s50, v5
	v_add_co_ci_u32_e64 v6, null, s33, 0, s0
	s_add_u32 s0, 0, 0x92481000
	s_addc_u32 s1, 0, 0x64
	s_mul_hi_u32 s17, s0, -7
	s_add_i32 s1, s1, 0x249248c0
	s_sub_i32 s17, s17, s0
	s_mul_i32 s18, s1, -7
	s_mul_i32 s14, s0, -7
	s_add_i32 s17, s17, s18
	s_mul_hi_u32 s15, s1, s14
	s_mul_i32 s16, s1, s14
	s_mul_i32 s19, s0, s17
	s_mul_hi_u32 s14, s0, s14
	s_mul_hi_u32 s18, s0, s17
	s_add_u32 s14, s14, s19
	s_addc_u32 s18, 0, s18
	s_mul_hi_u32 s19, s1, s17
	s_add_u32 s14, s14, s16
	s_addc_u32 s14, s18, s15
	s_mul_i32 s16, s1, s17
	s_addc_u32 s15, s19, 0
	s_add_u32 s14, s14, s16
	s_addc_u32 s15, 0, s15
	v_add_co_u32 v3, s0, s0, s14
	s_cmp_lg_u32 s0, 0
	s_mov_b32 s35, 0xbfd71e95
	s_addc_u32 s0, s1, s15
	v_mul_hi_u32 v4, v105, v3
	v_mad_u64_u32 v[1:2], null, v105, s0, 0
	s_mov_b32 s49, 0xbfe58eea
	s_mov_b32 s55, 0xbfeca52d
	;; [unrolled: 1-line block ×6, first 2 shown]
	v_add_co_u32 v7, vcc_lo, v4, v1
	v_mad_u64_u32 v[3:4], null, v6, v3, 0
	v_add_co_ci_u32_e32 v8, vcc_lo, 0, v2, vcc_lo
	v_mad_u64_u32 v[1:2], null, v6, s0, 0
	s_mov_b32 s43, 0xbfc7851a
	s_mov_b32 s20, 0x370991
	v_add_co_u32 v3, vcc_lo, v7, v3
	v_add_co_ci_u32_e32 v3, vcc_lo, v8, v4, vcc_lo
	v_add_co_ci_u32_e32 v2, vcc_lo, 0, v2, vcc_lo
	s_mov_b32 s16, 0x75d4884
	v_add_co_u32 v1, vcc_lo, v3, v1
	v_add_co_ci_u32_e32 v3, vcc_lo, 0, v2, vcc_lo
	s_mov_b32 s14, 0x2b2883cd
	v_mad_u64_u32 v[1:2], null, v1, 7, 0
	s_mov_b32 s18, 0xc61f0d01
	s_mov_b32 s28, 0x6ed5f1bb
	;; [unrolled: 1-line block ×6, first 2 shown]
	v_mad_u64_u32 v[2:3], null, v3, 7, v[2:3]
	v_sub_co_u32 v1, vcc_lo, v105, v1
	s_mov_b32 s15, 0x3fdc86fa
	s_mov_b32 s19, 0xbfd183b1
	s_mov_b32 s29, 0xbfe348c8
	s_mov_b32 s37, 0xbfeb34fa
	v_sub_co_ci_u32_e32 v2, vcc_lo, v6, v2, vcc_lo
	v_sub_co_u32 v3, vcc_lo, v1, 7
	s_mov_b32 s41, 0xbfef7484
	v_subrev_co_ci_u32_e32 v4, vcc_lo, 0, v2, vcc_lo
	v_cmp_lt_u32_e64 s0, 6, v3
	s_mov_b32 s61, 0x3fe0d888
	s_mov_b32 s60, s38
	v_cmp_eq_u32_e32 vcc_lo, 0, v4
	s_mov_b32 s57, 0x3feec746
	v_cndmask_b32_e64 v4, 0, -1, s0
	v_cmp_lt_u32_e64 s0, 6, v1
	s_mov_b32 s56, s22
	s_mov_b32 s47, 0x3feca52d
	;; [unrolled: 1-line block ×3, first 2 shown]
	v_cndmask_b32_e32 v4, -1, v4, vcc_lo
	s_mov_b32 s51, 0x3fd71e95
	s_mov_b32 s50, s34
	;; [unrolled: 1-line block ×4, first 2 shown]
	v_cmp_ne_u32_e32 vcc_lo, 0, v4
	v_add_nc_u32_e32 v4, -7, v3
	s_mov_b32 s53, 0x3fe58eea
	s_mov_b32 s52, s48
	;; [unrolled: 1-line block ×4, first 2 shown]
	v_cndmask_b32_e32 v3, v3, v4, vcc_lo
	v_cmp_eq_u32_e32 vcc_lo, 0, v2
	v_cndmask_b32_e64 v2, 0, -1, s0
	s_mov_b32 s0, 0x3259b75e
	s_mov_b32 s1, 0x3fb79ee6
	;; [unrolled: 1-line block ×4, first 2 shown]
	v_cndmask_b32_e32 v2, -1, v2, vcc_lo
	v_cmp_ne_u32_e32 vcc_lo, 0, v2
	v_mul_lo_u16 v2, v5, 17
	v_cndmask_b32_e32 v1, v1, v3, vcc_lo
	v_sub_nc_u16 v0, v0, v2
	v_mul_u32_u24_e32 v1, 0x121, v1
	v_and_b32_e32 v106, 0xffff, v0
	v_lshlrev_b32_e32 v0, 4, v1
	v_lshlrev_b32_e32 v1, 4, v106
	v_add_nc_u32_e32 v108, 0, v0
	v_add3_u32 v104, 0, v1, v0
	v_add_nc_u32_e32 v107, v108, v1
	ds_read_b128 v[44:47], v107
	ds_read_b128 v[48:51], v104 offset:272
	ds_read_b128 v[52:55], v104 offset:544
	;; [unrolled: 1-line block ×16, first 2 shown]
	s_waitcnt lgkmcnt(0)
	s_barrier
	buffer_gl0_inv
	v_add_f64 v[0:1], v[44:45], v[48:49]
	v_add_f64 v[2:3], v[46:47], v[50:51]
	;; [unrolled: 1-line block ×3, first 2 shown]
	v_add_f64 v[50:51], v[50:51], -v[70:71]
	v_add_f64 v[72:73], v[48:49], v[68:69]
	v_add_f64 v[48:49], v[48:49], -v[68:69]
	v_add_f64 v[0:1], v[0:1], v[52:53]
	v_add_f64 v[2:3], v[2:3], v[54:55]
	v_mul_f64 v[80:81], v[50:51], s[48:49]
	v_mul_f64 v[113:114], v[50:51], s[54:55]
	;; [unrolled: 1-line block ×14, first 2 shown]
	v_add_f64 v[0:1], v[0:1], v[56:57]
	v_add_f64 v[2:3], v[2:3], v[58:59]
	v_fma_f64 v[82:83], v[72:73], s[16:17], -v[80:81]
	v_fma_f64 v[80:81], v[72:73], s[16:17], v[80:81]
	v_fma_f64 v[115:116], v[72:73], s[14:15], -v[113:114]
	v_fma_f64 v[113:114], v[72:73], s[14:15], v[113:114]
	;; [unrolled: 2-line block ×6, first 2 shown]
	v_fma_f64 v[78:79], v[74:75], s[20:21], v[76:77]
	v_fma_f64 v[76:77], v[74:75], s[20:21], -v[76:77]
	v_fma_f64 v[111:112], v[74:75], s[16:17], v[109:110]
	v_fma_f64 v[109:110], v[74:75], s[16:17], -v[109:110]
	;; [unrolled: 2-line block ×3, first 2 shown]
	v_fma_f64 v[127:128], v[74:75], s[0:1], v[125:126]
	v_add_f64 v[0:1], v[0:1], v[36:37]
	v_add_f64 v[2:3], v[2:3], v[38:39]
	v_fma_f64 v[125:126], v[74:75], s[0:1], -v[125:126]
	v_add_f64 v[82:83], v[44:45], v[82:83]
	v_add_f64 v[80:81], v[44:45], v[80:81]
	;; [unrolled: 1-line block ×7, first 2 shown]
	v_fma_f64 v[135:136], v[74:75], s[18:19], v[133:134]
	v_add_f64 v[129:130], v[44:45], v[129:130]
	v_fma_f64 v[133:134], v[74:75], s[18:19], -v[133:134]
	v_add_f64 v[139:140], v[44:45], v[139:140]
	v_fma_f64 v[143:144], v[74:75], s[28:29], v[141:142]
	v_add_f64 v[137:138], v[44:45], v[137:138]
	v_fma_f64 v[141:142], v[74:75], s[28:29], -v[141:142]
	v_add_f64 v[147:148], v[44:45], v[147:148]
	v_fma_f64 v[151:152], v[74:75], s[36:37], v[149:150]
	v_add_f64 v[145:146], v[44:45], v[145:146]
	v_fma_f64 v[149:150], v[74:75], s[36:37], -v[149:150]
	v_fma_f64 v[155:156], v[74:75], s[40:41], v[48:49]
	v_add_f64 v[0:1], v[0:1], v[28:29]
	v_add_f64 v[2:3], v[2:3], v[30:31]
	v_fma_f64 v[48:49], v[74:75], s[40:41], -v[48:49]
	v_add_f64 v[78:79], v[46:47], v[78:79]
	v_add_f64 v[76:77], v[46:47], v[76:77]
	;; [unrolled: 1-line block ×19, first 2 shown]
	v_add_f64 v[52:53], v[52:53], -v[64:65]
	v_add_f64 v[0:1], v[0:1], v[12:13]
	v_add_f64 v[2:3], v[2:3], v[14:15]
	;; [unrolled: 1-line block ×19, first 2 shown]
	v_mul_f64 v[68:69], v[50:51], s[34:35]
	v_mul_f64 v[50:51], v[50:51], s[42:43]
	v_add_f64 v[2:3], v[2:3], v[70:71]
	v_fma_f64 v[70:71], v[72:73], s[20:21], -v[68:69]
	v_fma_f64 v[68:69], v[72:73], s[20:21], v[68:69]
	v_fma_f64 v[153:154], v[72:73], s[40:41], -v[50:51]
	v_fma_f64 v[50:51], v[72:73], s[40:41], v[50:51]
	v_add_f64 v[70:71], v[44:45], v[70:71]
	v_add_f64 v[68:69], v[44:45], v[68:69]
	;; [unrolled: 1-line block ×5, first 2 shown]
	v_add_f64 v[54:55], v[54:55], -v[66:67]
	v_mul_f64 v[64:65], v[54:55], s[48:49]
	v_fma_f64 v[66:67], v[48:49], s[16:17], -v[64:65]
	v_fma_f64 v[64:65], v[48:49], s[16:17], v[64:65]
	v_add_f64 v[66:67], v[66:67], v[70:71]
	v_mul_f64 v[70:71], v[52:53], s[48:49]
	v_add_f64 v[64:65], v[64:65], v[68:69]
	v_fma_f64 v[72:73], v[50:51], s[16:17], v[70:71]
	v_fma_f64 v[68:69], v[50:51], s[16:17], -v[70:71]
	v_mul_f64 v[70:71], v[54:55], s[44:45]
	v_add_f64 v[72:73], v[72:73], v[78:79]
	v_add_f64 v[68:69], v[68:69], v[76:77]
	v_fma_f64 v[74:75], v[48:49], s[0:1], -v[70:71]
	v_fma_f64 v[70:71], v[48:49], s[0:1], v[70:71]
	v_mul_f64 v[76:77], v[52:53], s[44:45]
	v_add_f64 v[74:75], v[74:75], v[82:83]
	v_add_f64 v[70:71], v[70:71], v[80:81]
	v_mul_f64 v[80:81], v[54:55], s[30:31]
	v_fma_f64 v[78:79], v[50:51], s[0:1], v[76:77]
	v_fma_f64 v[76:77], v[50:51], s[0:1], -v[76:77]
	v_fma_f64 v[82:83], v[48:49], s[28:29], -v[80:81]
	v_fma_f64 v[80:81], v[48:49], s[28:29], v[80:81]
	v_add_f64 v[76:77], v[76:77], v[109:110]
	v_mul_f64 v[109:110], v[52:53], s[30:31]
	v_add_f64 v[78:79], v[78:79], v[111:112]
	v_add_f64 v[82:83], v[82:83], v[115:116]
	v_add_f64 v[80:81], v[80:81], v[113:114]
	v_mul_f64 v[113:114], v[54:55], s[42:43]
	v_fma_f64 v[111:112], v[50:51], s[28:29], v[109:110]
	v_fma_f64 v[109:110], v[50:51], s[28:29], -v[109:110]
	v_fma_f64 v[115:116], v[48:49], s[40:41], -v[113:114]
	v_fma_f64 v[113:114], v[48:49], s[40:41], v[113:114]
	v_add_f64 v[109:110], v[109:110], v[117:118]
	v_mul_f64 v[117:118], v[52:53], s[42:43]
	v_add_f64 v[111:112], v[111:112], v[119:120]
	;; [unrolled: 10-line block ×4, first 2 shown]
	v_add_f64 v[131:132], v[131:132], v[139:140]
	v_add_f64 v[129:130], v[129:130], v[137:138]
	v_mul_f64 v[137:138], v[54:55], s[46:47]
	v_fma_f64 v[135:136], v[50:51], s[18:19], v[133:134]
	v_fma_f64 v[133:134], v[50:51], s[18:19], -v[133:134]
	v_mul_f64 v[54:55], v[54:55], s[50:51]
	v_fma_f64 v[139:140], v[48:49], s[14:15], -v[137:138]
	v_fma_f64 v[137:138], v[48:49], s[14:15], v[137:138]
	v_add_f64 v[133:134], v[133:134], v[141:142]
	v_mul_f64 v[141:142], v[52:53], s[46:47]
	v_mul_f64 v[52:53], v[52:53], s[50:51]
	v_add_f64 v[135:136], v[135:136], v[143:144]
	v_add_f64 v[139:140], v[139:140], v[147:148]
	;; [unrolled: 1-line block ×3, first 2 shown]
	v_fma_f64 v[145:146], v[48:49], s[20:21], -v[54:55]
	v_fma_f64 v[48:49], v[48:49], s[20:21], v[54:55]
	v_add_f64 v[54:55], v[58:59], -v[62:63]
	v_fma_f64 v[147:148], v[50:51], s[20:21], v[52:53]
	v_fma_f64 v[143:144], v[50:51], s[14:15], v[141:142]
	v_fma_f64 v[141:142], v[50:51], s[14:15], -v[141:142]
	v_add_f64 v[145:146], v[145:146], v[153:154]
	v_add_f64 v[44:45], v[48:49], v[44:45]
	v_fma_f64 v[48:49], v[50:51], s[20:21], -v[52:53]
	v_add_f64 v[52:53], v[56:57], -v[60:61]
	v_add_f64 v[50:51], v[58:59], v[62:63]
	v_add_f64 v[143:144], v[143:144], v[151:152]
	;; [unrolled: 1-line block ×6, first 2 shown]
	v_mul_f64 v[56:57], v[54:55], s[54:55]
	v_mul_f64 v[60:61], v[52:53], s[54:55]
	v_fma_f64 v[58:59], v[48:49], s[14:15], -v[56:57]
	v_fma_f64 v[56:57], v[48:49], s[14:15], v[56:57]
	v_fma_f64 v[62:63], v[50:51], s[14:15], v[60:61]
	v_fma_f64 v[60:61], v[50:51], s[14:15], -v[60:61]
	v_add_f64 v[58:59], v[58:59], v[66:67]
	v_add_f64 v[56:57], v[56:57], v[64:65]
	v_mul_f64 v[64:65], v[54:55], s[30:31]
	v_add_f64 v[60:61], v[60:61], v[68:69]
	v_mul_f64 v[68:69], v[52:53], s[30:31]
	v_add_f64 v[62:63], v[62:63], v[72:73]
	v_fma_f64 v[66:67], v[48:49], s[28:29], -v[64:65]
	v_fma_f64 v[64:65], v[48:49], s[28:29], v[64:65]
	v_fma_f64 v[72:73], v[50:51], s[28:29], v[68:69]
	v_fma_f64 v[68:69], v[50:51], s[28:29], -v[68:69]
	v_add_f64 v[66:67], v[66:67], v[74:75]
	v_add_f64 v[64:65], v[64:65], v[70:71]
	v_mul_f64 v[70:71], v[54:55], s[64:65]
	v_add_f64 v[68:69], v[68:69], v[76:77]
	v_mul_f64 v[76:77], v[52:53], s[64:65]
	v_add_f64 v[72:73], v[72:73], v[78:79]
	;; [unrolled: 10-line block ×5, first 2 shown]
	v_fma_f64 v[123:124], v[48:49], s[20:21], -v[121:122]
	v_fma_f64 v[121:122], v[48:49], s[20:21], v[121:122]
	v_fma_f64 v[127:128], v[50:51], s[20:21], v[125:126]
	v_fma_f64 v[125:126], v[50:51], s[20:21], -v[125:126]
	v_add_f64 v[123:124], v[123:124], v[131:132]
	v_add_f64 v[121:122], v[121:122], v[129:130]
	v_mul_f64 v[129:130], v[54:55], s[44:45]
	v_mul_f64 v[54:55], v[54:55], s[38:39]
	v_add_f64 v[125:126], v[125:126], v[133:134]
	v_mul_f64 v[133:134], v[52:53], s[44:45]
	v_mul_f64 v[52:53], v[52:53], s[38:39]
	v_add_f64 v[127:128], v[127:128], v[135:136]
	v_fma_f64 v[131:132], v[48:49], s[0:1], -v[129:130]
	v_fma_f64 v[129:130], v[48:49], s[0:1], v[129:130]
	v_fma_f64 v[135:136], v[50:51], s[0:1], v[133:134]
	v_fma_f64 v[133:134], v[50:51], s[0:1], -v[133:134]
	v_add_f64 v[131:132], v[131:132], v[139:140]
	v_add_f64 v[129:130], v[129:130], v[137:138]
	v_fma_f64 v[137:138], v[48:49], s[36:37], -v[54:55]
	v_fma_f64 v[48:49], v[48:49], s[36:37], v[54:55]
	v_fma_f64 v[139:140], v[50:51], s[36:37], v[52:53]
	v_add_f64 v[135:136], v[135:136], v[143:144]
	v_add_f64 v[133:134], v[133:134], v[141:142]
	;; [unrolled: 1-line block ×4, first 2 shown]
	v_fma_f64 v[48:49], v[50:51], s[36:37], -v[52:53]
	v_add_f64 v[50:51], v[38:39], v[42:43]
	v_add_f64 v[38:39], v[38:39], -v[42:43]
	v_add_f64 v[139:140], v[139:140], v[147:148]
	v_add_f64 v[46:47], v[48:49], v[46:47]
	;; [unrolled: 1-line block ×3, first 2 shown]
	v_add_f64 v[36:37], v[36:37], -v[40:41]
	v_mul_f64 v[40:41], v[38:39], s[44:45]
	v_mul_f64 v[52:53], v[36:37], s[44:45]
	v_fma_f64 v[42:43], v[48:49], s[0:1], -v[40:41]
	v_fma_f64 v[40:41], v[48:49], s[0:1], v[40:41]
	v_fma_f64 v[54:55], v[50:51], s[0:1], v[52:53]
	v_fma_f64 v[52:53], v[50:51], s[0:1], -v[52:53]
	v_add_f64 v[40:41], v[40:41], v[56:57]
	v_mul_f64 v[56:57], v[38:39], s[42:43]
	v_add_f64 v[42:43], v[42:43], v[58:59]
	v_add_f64 v[54:55], v[54:55], v[62:63]
	v_add_f64 v[52:53], v[52:53], v[60:61]
	v_mul_f64 v[60:61], v[36:37], s[42:43]
	v_fma_f64 v[58:59], v[48:49], s[40:41], -v[56:57]
	v_fma_f64 v[56:57], v[48:49], s[40:41], v[56:57]
	v_fma_f64 v[62:63], v[50:51], s[40:41], v[60:61]
	v_fma_f64 v[60:61], v[50:51], s[40:41], -v[60:61]
	v_add_f64 v[56:57], v[56:57], v[64:65]
	v_mul_f64 v[64:65], v[38:39], s[56:57]
	v_add_f64 v[58:59], v[58:59], v[66:67]
	v_add_f64 v[62:63], v[62:63], v[72:73]
	v_add_f64 v[60:61], v[60:61], v[68:69]
	;; [unrolled: 10-line block ×5, first 2 shown]
	v_mul_f64 v[117:118], v[36:37], s[38:39]
	v_fma_f64 v[115:116], v[48:49], s[36:37], -v[113:114]
	v_fma_f64 v[113:114], v[48:49], s[36:37], v[113:114]
	v_fma_f64 v[119:120], v[50:51], s[36:37], v[117:118]
	v_fma_f64 v[117:118], v[50:51], s[36:37], -v[117:118]
	v_add_f64 v[113:114], v[113:114], v[121:122]
	v_mul_f64 v[121:122], v[38:39], s[62:63]
	v_add_f64 v[115:116], v[115:116], v[123:124]
	v_mul_f64 v[38:39], v[38:39], s[52:53]
	v_add_f64 v[119:120], v[119:120], v[127:128]
	v_add_f64 v[117:118], v[117:118], v[125:126]
	v_mul_f64 v[125:126], v[36:37], s[62:63]
	v_fma_f64 v[123:124], v[48:49], s[28:29], -v[121:122]
	v_mul_f64 v[36:37], v[36:37], s[52:53]
	v_fma_f64 v[121:122], v[48:49], s[28:29], v[121:122]
	v_fma_f64 v[127:128], v[50:51], s[28:29], v[125:126]
	v_add_f64 v[123:124], v[123:124], v[131:132]
	v_fma_f64 v[131:132], v[50:51], s[16:17], v[36:37]
	v_fma_f64 v[36:37], v[50:51], s[16:17], -v[36:37]
	v_add_f64 v[121:122], v[121:122], v[129:130]
	v_fma_f64 v[129:130], v[48:49], s[16:17], -v[38:39]
	v_fma_f64 v[38:39], v[48:49], s[16:17], v[38:39]
	v_fma_f64 v[125:126], v[50:51], s[28:29], -v[125:126]
	v_add_f64 v[127:128], v[127:128], v[135:136]
	v_add_f64 v[135:136], v[14:15], -v[18:19]
	v_add_f64 v[131:132], v[131:132], v[139:140]
	v_add_f64 v[36:37], v[36:37], v[46:47]
	;; [unrolled: 1-line block ×3, first 2 shown]
	v_add_f64 v[30:31], v[30:31], -v[34:35]
	v_add_f64 v[38:39], v[38:39], v[44:45]
	v_add_f64 v[44:45], v[28:29], v[32:33]
	v_add_f64 v[28:29], v[28:29], -v[32:33]
	v_add_f64 v[129:130], v[129:130], v[137:138]
	v_add_f64 v[125:126], v[125:126], v[133:134]
	v_add_f64 v[133:134], v[12:13], -v[16:17]
	v_mul_f64 v[32:33], v[30:31], s[22:23]
	v_fma_f64 v[34:35], v[44:45], s[18:19], -v[32:33]
	v_fma_f64 v[32:33], v[44:45], s[18:19], v[32:33]
	v_add_f64 v[34:35], v[34:35], v[42:43]
	v_mul_f64 v[42:43], v[28:29], s[22:23]
	v_add_f64 v[32:33], v[32:33], v[40:41]
	v_fma_f64 v[48:49], v[46:47], s[18:19], v[42:43]
	v_fma_f64 v[40:41], v[46:47], s[18:19], -v[42:43]
	v_mul_f64 v[42:43], v[30:31], s[60:61]
	v_add_f64 v[48:49], v[48:49], v[54:55]
	v_add_f64 v[40:41], v[40:41], v[52:53]
	v_fma_f64 v[50:51], v[44:45], s[36:37], -v[42:43]
	v_fma_f64 v[42:43], v[44:45], s[36:37], v[42:43]
	v_mul_f64 v[52:53], v[28:29], s[60:61]
	v_add_f64 v[50:51], v[50:51], v[58:59]
	v_add_f64 v[42:43], v[42:43], v[56:57]
	v_mul_f64 v[56:57], v[30:31], s[52:53]
	v_fma_f64 v[54:55], v[46:47], s[36:37], v[52:53]
	v_fma_f64 v[52:53], v[46:47], s[36:37], -v[52:53]
	v_fma_f64 v[58:59], v[44:45], s[16:17], -v[56:57]
	v_fma_f64 v[56:57], v[44:45], s[16:17], v[56:57]
	v_add_f64 v[52:53], v[52:53], v[60:61]
	v_mul_f64 v[60:61], v[28:29], s[52:53]
	v_add_f64 v[54:55], v[54:55], v[62:63]
	v_add_f64 v[58:59], v[58:59], v[66:67]
	v_add_f64 v[56:57], v[56:57], v[64:65]
	v_mul_f64 v[64:65], v[30:31], s[54:55]
	v_fma_f64 v[62:63], v[46:47], s[16:17], v[60:61]
	v_fma_f64 v[60:61], v[46:47], s[16:17], -v[60:61]
	v_fma_f64 v[66:67], v[44:45], s[14:15], -v[64:65]
	v_fma_f64 v[64:65], v[44:45], s[14:15], v[64:65]
	v_add_f64 v[60:61], v[60:61], v[68:69]
	v_mul_f64 v[68:69], v[28:29], s[54:55]
	v_add_f64 v[62:63], v[62:63], v[72:73]
	;; [unrolled: 10-line block ×4, first 2 shown]
	v_add_f64 v[82:83], v[82:83], v[115:116]
	v_add_f64 v[80:81], v[80:81], v[113:114]
	v_mul_f64 v[113:114], v[30:31], s[34:35]
	v_fma_f64 v[111:112], v[46:47], s[0:1], v[109:110]
	v_fma_f64 v[109:110], v[46:47], s[0:1], -v[109:110]
	v_mul_f64 v[30:31], v[30:31], s[30:31]
	v_fma_f64 v[115:116], v[44:45], s[20:21], -v[113:114]
	v_fma_f64 v[113:114], v[44:45], s[20:21], v[113:114]
	v_add_f64 v[109:110], v[109:110], v[117:118]
	v_mul_f64 v[117:118], v[28:29], s[34:35]
	v_mul_f64 v[28:29], v[28:29], s[30:31]
	v_add_f64 v[111:112], v[111:112], v[119:120]
	v_add_f64 v[115:116], v[115:116], v[123:124]
	;; [unrolled: 1-line block ×3, first 2 shown]
	v_fma_f64 v[121:122], v[44:45], s[28:29], -v[30:31]
	v_fma_f64 v[30:31], v[44:45], s[28:29], v[30:31]
	v_fma_f64 v[123:124], v[46:47], s[28:29], v[28:29]
	v_fma_f64 v[28:29], v[46:47], s[28:29], -v[28:29]
	v_fma_f64 v[119:120], v[46:47], s[20:21], v[117:118]
	v_fma_f64 v[117:118], v[46:47], s[20:21], -v[117:118]
	v_add_f64 v[121:122], v[121:122], v[129:130]
	v_add_f64 v[30:31], v[30:31], v[38:39]
	;; [unrolled: 1-line block ×3, first 2 shown]
	v_add_f64 v[22:23], v[22:23], -v[26:27]
	v_add_f64 v[28:29], v[28:29], v[36:37]
	v_add_f64 v[36:37], v[20:21], v[24:25]
	v_add_f64 v[20:21], v[20:21], -v[24:25]
	v_add_f64 v[129:130], v[12:13], v[16:17]
	v_mul_f64 v[12:13], v[135:136], s[38:39]
	v_add_f64 v[117:118], v[117:118], v[125:126]
	v_add_f64 v[123:124], v[123:124], v[131:132]
	;; [unrolled: 1-line block ×4, first 2 shown]
	v_mul_f64 v[18:19], v[133:134], s[46:47]
	v_mul_f64 v[24:25], v[22:23], s[30:31]
	;; [unrolled: 1-line block ×3, first 2 shown]
	v_fma_f64 v[14:15], v[129:130], s[36:37], -v[12:13]
	v_fma_f64 v[12:13], v[129:130], s[36:37], v[12:13]
	v_fma_f64 v[26:27], v[36:37], s[28:29], -v[24:25]
	v_fma_f64 v[24:25], v[36:37], s[28:29], v[24:25]
	v_add_f64 v[26:27], v[26:27], v[34:35]
	v_mul_f64 v[34:35], v[20:21], s[30:31]
	v_add_f64 v[24:25], v[24:25], v[32:33]
	v_fma_f64 v[44:45], v[38:39], s[28:29], v[34:35]
	v_fma_f64 v[32:33], v[38:39], s[28:29], -v[34:35]
	v_mul_f64 v[34:35], v[22:23], s[56:57]
	v_add_f64 v[44:45], v[44:45], v[48:49]
	v_add_f64 v[32:33], v[32:33], v[40:41]
	v_fma_f64 v[40:41], v[36:37], s[18:19], -v[34:35]
	v_fma_f64 v[34:35], v[36:37], s[18:19], v[34:35]
	v_fma_f64 v[48:49], v[38:39], s[18:19], v[46:47]
	v_add_f64 v[40:41], v[40:41], v[50:51]
	v_add_f64 v[34:35], v[34:35], v[42:43]
	v_fma_f64 v[42:43], v[38:39], s[18:19], -v[46:47]
	v_add_f64 v[48:49], v[48:49], v[54:55]
	v_mul_f64 v[46:47], v[22:23], s[34:35]
	v_add_f64 v[42:43], v[42:43], v[52:53]
	v_mul_f64 v[52:53], v[20:21], s[34:35]
	v_fma_f64 v[50:51], v[36:37], s[20:21], -v[46:47]
	v_fma_f64 v[46:47], v[36:37], s[20:21], v[46:47]
	v_fma_f64 v[54:55], v[38:39], s[20:21], v[52:53]
	v_fma_f64 v[52:53], v[38:39], s[20:21], -v[52:53]
	v_add_f64 v[46:47], v[46:47], v[56:57]
	v_mul_f64 v[56:57], v[22:23], s[38:39]
	v_add_f64 v[50:51], v[50:51], v[58:59]
	v_add_f64 v[54:55], v[54:55], v[62:63]
	;; [unrolled: 1-line block ×3, first 2 shown]
	v_mul_f64 v[60:61], v[20:21], s[38:39]
	v_fma_f64 v[58:59], v[36:37], s[36:37], -v[56:57]
	v_fma_f64 v[56:57], v[36:37], s[36:37], v[56:57]
	v_fma_f64 v[62:63], v[38:39], s[36:37], v[60:61]
	v_fma_f64 v[60:61], v[38:39], s[36:37], -v[60:61]
	v_add_f64 v[56:57], v[56:57], v[64:65]
	v_mul_f64 v[64:65], v[22:23], s[58:59]
	v_add_f64 v[58:59], v[58:59], v[66:67]
	v_add_f64 v[62:63], v[62:63], v[72:73]
	;; [unrolled: 1-line block ×3, first 2 shown]
	v_mul_f64 v[68:69], v[20:21], s[58:59]
	v_fma_f64 v[66:67], v[36:37], s[0:1], -v[64:65]
	v_fma_f64 v[64:65], v[36:37], s[0:1], v[64:65]
	v_fma_f64 v[72:73], v[38:39], s[0:1], v[68:69]
	v_fma_f64 v[68:69], v[38:39], s[0:1], -v[68:69]
	v_add_f64 v[64:65], v[64:65], v[70:71]
	v_add_f64 v[66:67], v[66:67], v[74:75]
	;; [unrolled: 1-line block ×3, first 2 shown]
	v_mul_f64 v[14:15], v[133:134], s[38:39]
	v_mul_f64 v[26:27], v[133:134], s[44:45]
	v_add_f64 v[78:79], v[72:73], v[78:79]
	v_add_f64 v[76:77], v[68:69], v[76:77]
	v_mul_f64 v[68:69], v[22:23], s[48:49]
	v_fma_f64 v[16:17], v[131:132], s[36:37], v[14:15]
	v_fma_f64 v[70:71], v[36:37], s[16:17], -v[68:69]
	v_fma_f64 v[68:69], v[36:37], s[16:17], v[68:69]
	v_add_f64 v[82:83], v[70:71], v[82:83]
	v_mul_f64 v[70:71], v[20:21], s[48:49]
	v_add_f64 v[80:81], v[68:69], v[80:81]
	v_fma_f64 v[68:69], v[38:39], s[16:17], -v[70:71]
	v_fma_f64 v[72:73], v[38:39], s[16:17], v[70:71]
	v_add_f64 v[109:110], v[68:69], v[109:110]
	v_mul_f64 v[68:69], v[22:23], s[42:43]
	v_mul_f64 v[22:23], v[22:23], s[46:47]
	v_add_f64 v[111:112], v[72:73], v[111:112]
	v_fma_f64 v[70:71], v[36:37], s[40:41], -v[68:69]
	v_fma_f64 v[68:69], v[36:37], s[40:41], v[68:69]
	v_add_f64 v[115:116], v[70:71], v[115:116]
	v_mul_f64 v[70:71], v[20:21], s[42:43]
	v_add_f64 v[113:114], v[68:69], v[113:114]
	v_mul_f64 v[20:21], v[20:21], s[46:47]
	v_fma_f64 v[68:69], v[38:39], s[40:41], -v[70:71]
	v_fma_f64 v[72:73], v[38:39], s[40:41], v[70:71]
	v_add_f64 v[70:71], v[12:13], v[24:25]
	v_fma_f64 v[12:13], v[131:132], s[36:37], -v[14:15]
	v_fma_f64 v[14:15], v[131:132], s[14:15], v[18:19]
	v_fma_f64 v[18:19], v[131:132], s[14:15], -v[18:19]
	v_mul_f64 v[24:25], v[135:136], s[44:45]
	v_add_f64 v[117:118], v[68:69], v[117:118]
	v_fma_f64 v[68:69], v[36:37], s[14:15], -v[22:23]
	v_fma_f64 v[22:23], v[36:37], s[14:15], v[22:23]
	v_add_f64 v[119:120], v[72:73], v[119:120]
	v_add_f64 v[72:73], v[12:13], v[32:33]
	;; [unrolled: 1-line block ×4, first 2 shown]
	v_mul_f64 v[32:33], v[135:136], s[62:63]
	v_mul_f64 v[42:43], v[133:134], s[34:35]
	;; [unrolled: 1-line block ×3, first 2 shown]
	v_add_f64 v[121:122], v[68:69], v[121:122]
	v_fma_f64 v[68:69], v[38:39], s[14:15], v[20:21]
	v_add_f64 v[125:126], v[22:23], v[30:31]
	v_fma_f64 v[22:23], v[131:132], s[0:1], v[26:27]
	v_fma_f64 v[26:27], v[131:132], s[0:1], -v[26:27]
	v_fma_f64 v[20:21], v[38:39], s[14:15], -v[20:21]
	v_fma_f64 v[38:39], v[131:132], s[20:21], v[42:43]
	v_fma_f64 v[42:43], v[131:132], s[20:21], -v[42:43]
	v_add_f64 v[123:124], v[68:69], v[123:124]
	v_add_f64 v[68:69], v[16:17], v[44:45]
	v_mul_f64 v[16:17], v[135:136], s[46:47]
	v_add_f64 v[26:27], v[26:27], v[52:53]
	v_mul_f64 v[52:53], v[135:136], s[52:53]
	v_add_f64 v[22:23], v[22:23], v[54:55]
	v_add_f64 v[127:128], v[20:21], v[28:29]
	v_fma_f64 v[28:29], v[129:130], s[28:29], -v[32:33]
	v_fma_f64 v[32:33], v[129:130], s[28:29], v[32:33]
	v_fma_f64 v[44:45], v[129:130], s[40:41], -v[48:49]
	v_add_f64 v[42:43], v[42:43], v[76:77]
	v_fma_f64 v[48:49], v[129:130], s[40:41], v[48:49]
	v_mul_f64 v[76:77], v[133:134], s[22:23]
	v_add_f64 v[38:39], v[38:39], v[78:79]
	v_add_f64 v[78:79], v[4:5], v[8:9]
	v_fma_f64 v[20:21], v[129:130], s[0:1], -v[24:25]
	v_fma_f64 v[24:25], v[129:130], s[0:1], v[24:25]
	v_fma_f64 v[12:13], v[129:130], s[14:15], -v[16:17]
	v_fma_f64 v[16:17], v[129:130], s[14:15], v[16:17]
	;; [unrolled: 2-line block ×3, first 2 shown]
	v_add_f64 v[28:29], v[28:29], v[58:59]
	v_add_f64 v[32:33], v[32:33], v[56:57]
	;; [unrolled: 1-line block ×3, first 2 shown]
	v_add_f64 v[82:83], v[6:7], -v[10:11]
	v_add_f64 v[48:49], v[48:49], v[80:81]
	v_add_f64 v[80:81], v[4:5], -v[8:9]
	v_add_f64 v[20:21], v[20:21], v[50:51]
	v_add_f64 v[24:25], v[24:25], v[46:47]
	v_mul_f64 v[50:51], v[133:134], s[42:43]
	v_add_f64 v[12:13], v[12:13], v[40:41]
	v_mul_f64 v[40:41], v[135:136], s[34:35]
	;; [unrolled: 2-line block ×3, first 2 shown]
	v_mul_f64 v[4:5], v[82:83], s[42:43]
	v_fma_f64 v[46:47], v[131:132], s[40:41], v[50:51]
	v_fma_f64 v[50:51], v[131:132], s[40:41], -v[50:51]
	v_fma_f64 v[36:37], v[129:130], s[20:21], -v[40:41]
	v_fma_f64 v[40:41], v[129:130], s[20:21], v[40:41]
	v_fma_f64 v[30:31], v[131:132], s[28:29], v[34:35]
	v_fma_f64 v[34:35], v[131:132], s[28:29], -v[34:35]
	v_add_f64 v[46:47], v[46:47], v[111:112]
	v_add_f64 v[50:51], v[50:51], v[109:110]
	;; [unrolled: 1-line block ×4, first 2 shown]
	v_mul_f64 v[54:55], v[133:134], s[52:53]
	v_add_f64 v[30:31], v[30:31], v[62:63]
	v_add_f64 v[62:63], v[52:53], v[113:114]
	;; [unrolled: 1-line block ×4, first 2 shown]
	v_lshlrev_b32_e32 v113, 8, v106
	v_fma_f64 v[52:53], v[131:132], s[16:17], -v[54:55]
	v_fma_f64 v[56:57], v[131:132], s[16:17], v[54:55]
	v_add_f64 v[60:61], v[52:53], v[117:118]
	v_mul_f64 v[52:53], v[135:136], s[22:23]
	v_add_f64 v[64:65], v[56:57], v[119:120]
	v_fma_f64 v[54:55], v[129:130], s[18:19], -v[52:53]
	v_fma_f64 v[52:53], v[129:130], s[18:19], v[52:53]
	v_add_f64 v[58:59], v[54:55], v[121:122]
	v_fma_f64 v[54:55], v[131:132], s[18:19], v[76:77]
	v_add_f64 v[56:57], v[54:55], v[123:124]
	v_add_f64 v[54:55], v[52:53], v[125:126]
	v_fma_f64 v[52:53], v[131:132], s[18:19], -v[76:77]
	v_add_f64 v[76:77], v[6:7], v[10:11]
	v_fma_f64 v[6:7], v[78:79], s[40:41], -v[4:5]
	v_fma_f64 v[4:5], v[78:79], s[40:41], v[4:5]
	v_add_f64 v[52:53], v[52:53], v[127:128]
	v_add_f64 v[8:9], v[6:7], v[74:75]
	v_mul_f64 v[6:7], v[80:81], s[42:43]
	v_add_f64 v[4:5], v[4:5], v[70:71]
	v_fma_f64 v[10:11], v[76:77], s[40:41], v[6:7]
	v_fma_f64 v[6:7], v[76:77], s[40:41], -v[6:7]
	v_add_f64 v[10:11], v[10:11], v[68:69]
	v_mul_f64 v[68:69], v[82:83], s[50:51]
	v_add_f64 v[6:7], v[6:7], v[72:73]
	v_fma_f64 v[70:71], v[78:79], s[20:21], -v[68:69]
	v_fma_f64 v[68:69], v[78:79], s[20:21], v[68:69]
	v_add_f64 v[12:13], v[70:71], v[12:13]
	v_mul_f64 v[70:71], v[80:81], s[50:51]
	v_add_f64 v[16:17], v[68:69], v[16:17]
	v_fma_f64 v[68:69], v[76:77], s[20:21], -v[70:71]
	v_fma_f64 v[72:73], v[76:77], s[20:21], v[70:71]
	;; [unrolled: 5-line block ×9, first 2 shown]
	v_add_f64 v[44:45], v[70:71], v[44:45]
	v_mul_f64 v[70:71], v[80:81], s[46:47]
	v_add_f64 v[48:49], v[68:69], v[48:49]
	v_fma_f64 v[72:73], v[76:77], s[14:15], v[70:71]
	v_fma_f64 v[68:69], v[76:77], s[14:15], -v[70:71]
	v_mul_f64 v[70:71], v[82:83], s[22:23]
	v_add_f64 v[46:47], v[72:73], v[46:47]
	v_add_f64 v[50:51], v[68:69], v[50:51]
	v_fma_f64 v[68:69], v[78:79], s[18:19], -v[70:71]
	v_mul_f64 v[72:73], v[80:81], s[22:23]
	v_add_f64 v[66:67], v[68:69], v[66:67]
	v_fma_f64 v[68:69], v[76:77], s[18:19], v[72:73]
	v_add_f64 v[68:69], v[68:69], v[64:65]
	v_fma_f64 v[64:65], v[78:79], s[18:19], v[70:71]
	v_mul_f64 v[70:71], v[82:83], s[58:59]
	v_add_f64 v[62:63], v[64:65], v[62:63]
	v_fma_f64 v[64:65], v[76:77], s[18:19], -v[72:73]
	v_mul_f64 v[72:73], v[80:81], s[58:59]
	v_add_f64 v[64:65], v[64:65], v[60:61]
	v_fma_f64 v[60:61], v[78:79], s[0:1], -v[70:71]
	v_add_f64 v[58:59], v[60:61], v[58:59]
	v_fma_f64 v[60:61], v[76:77], s[0:1], v[72:73]
	v_add_f64 v[60:61], v[60:61], v[56:57]
	v_fma_f64 v[56:57], v[78:79], s[0:1], v[70:71]
	v_add_f64 v[54:55], v[56:57], v[54:55]
	v_fma_f64 v[56:57], v[76:77], s[0:1], -v[72:73]
	v_add_f64 v[56:57], v[56:57], v[52:53]
	v_mad_u32_u24 v52, 0x110, v106, v108
	ds_write_b128 v52, v[0:3]
	ds_write_b128 v52, v[8:11] offset:16
	ds_write_b128 v52, v[12:15] offset:32
	;; [unrolled: 1-line block ×16, first 2 shown]
	s_waitcnt lgkmcnt(0)
	s_barrier
	buffer_gl0_inv
	ds_read_b128 v[0:3], v107
	ds_read_b128 v[36:39], v104 offset:272
	ds_read_b128 v[40:43], v104 offset:544
	;; [unrolled: 1-line block ×16, first 2 shown]
	s_clause 0x3
	global_load_dwordx4 v[78:81], v113, s[26:27] offset:48
	global_load_dwordx4 v[52:55], v113, s[26:27] offset:32
	global_load_dwordx4 v[56:59], v113, s[26:27] offset:16
	global_load_dwordx4 v[107:110], v113, s[26:27]
	s_waitcnt vmcnt(0) lgkmcnt(15)
	v_mul_f64 v[60:61], v[38:39], v[109:110]
	v_fma_f64 v[82:83], v[36:37], v[107:108], -v[60:61]
	v_mul_f64 v[36:37], v[36:37], v[109:110]
	v_fma_f64 v[107:108], v[38:39], v[107:108], v[36:37]
	s_waitcnt lgkmcnt(14)
	v_mul_f64 v[36:37], v[42:43], v[58:59]
	v_fma_f64 v[109:110], v[40:41], v[56:57], -v[36:37]
	v_mul_f64 v[36:37], v[40:41], v[58:59]
	v_fma_f64 v[111:112], v[42:43], v[56:57], v[36:37]
	s_waitcnt lgkmcnt(13)
	;; [unrolled: 5-line block ×3, first 2 shown]
	v_mul_f64 v[36:37], v[50:51], v[80:81]
	v_fma_f64 v[54:55], v[48:49], v[78:79], -v[36:37]
	v_mul_f64 v[36:37], v[48:49], v[80:81]
	v_fma_f64 v[56:57], v[50:51], v[78:79], v[36:37]
	s_clause 0x3
	global_load_dwordx4 v[78:81], v113, s[26:27] offset:112
	global_load_dwordx4 v[36:39], v113, s[26:27] offset:96
	global_load_dwordx4 v[40:43], v113, s[26:27] offset:80
	global_load_dwordx4 v[44:47], v113, s[26:27] offset:64
	s_waitcnt vmcnt(0) lgkmcnt(11)
	v_mul_f64 v[48:49], v[64:65], v[46:47]
	v_mul_f64 v[46:47], v[62:63], v[46:47]
	v_fma_f64 v[50:51], v[62:63], v[44:45], -v[48:49]
	v_fma_f64 v[52:53], v[64:65], v[44:45], v[46:47]
	s_waitcnt lgkmcnt(10)
	v_mul_f64 v[44:45], v[68:69], v[42:43]
	v_mul_f64 v[42:43], v[66:67], v[42:43]
	v_fma_f64 v[46:47], v[66:67], v[40:41], -v[44:45]
	v_fma_f64 v[48:49], v[68:69], v[40:41], v[42:43]
	s_waitcnt lgkmcnt(9)
	;; [unrolled: 5-line block ×3, first 2 shown]
	v_mul_f64 v[36:37], v[76:77], v[80:81]
	v_mul_f64 v[38:39], v[74:75], v[80:81]
	v_fma_f64 v[36:37], v[74:75], v[78:79], -v[36:37]
	v_fma_f64 v[38:39], v[76:77], v[78:79], v[38:39]
	s_clause 0x3
	global_load_dwordx4 v[62:65], v113, s[26:27] offset:176
	global_load_dwordx4 v[66:69], v113, s[26:27] offset:160
	;; [unrolled: 1-line block ×4, first 2 shown]
	s_waitcnt vmcnt(0) lgkmcnt(7)
	v_mul_f64 v[44:45], v[34:35], v[76:77]
	v_fma_f64 v[44:45], v[32:33], v[74:75], -v[44:45]
	v_mul_f64 v[32:33], v[32:33], v[76:77]
	v_fma_f64 v[32:33], v[34:35], v[74:75], v[32:33]
	s_waitcnt lgkmcnt(6)
	v_mul_f64 v[34:35], v[30:31], v[72:73]
	v_fma_f64 v[34:35], v[28:29], v[70:71], -v[34:35]
	v_mul_f64 v[28:29], v[28:29], v[72:73]
	v_fma_f64 v[28:29], v[30:31], v[70:71], v[28:29]
	s_waitcnt lgkmcnt(5)
	;; [unrolled: 5-line block ×3, first 2 shown]
	v_mul_f64 v[26:27], v[22:23], v[64:65]
	v_fma_f64 v[26:27], v[20:21], v[62:63], -v[26:27]
	v_mul_f64 v[20:21], v[20:21], v[64:65]
	v_fma_f64 v[74:75], v[22:23], v[62:63], v[20:21]
	s_clause 0x3
	global_load_dwordx4 v[20:23], v113, s[26:27] offset:240
	global_load_dwordx4 v[62:65], v113, s[26:27] offset:224
	;; [unrolled: 1-line block ×4, first 2 shown]
	s_waitcnt vmcnt(0) lgkmcnt(3)
	v_mul_f64 v[76:77], v[18:19], v[72:73]
	v_fma_f64 v[76:77], v[16:17], v[70:71], -v[76:77]
	v_mul_f64 v[16:17], v[16:17], v[72:73]
	v_fma_f64 v[16:17], v[18:19], v[70:71], v[16:17]
	s_waitcnt lgkmcnt(2)
	v_mul_f64 v[18:19], v[14:15], v[68:69]
	v_fma_f64 v[18:19], v[12:13], v[66:67], -v[18:19]
	v_mul_f64 v[12:13], v[12:13], v[68:69]
	v_fma_f64 v[12:13], v[14:15], v[66:67], v[12:13]
	s_waitcnt lgkmcnt(1)
	v_mul_f64 v[14:15], v[10:11], v[64:65]
	v_fma_f64 v[14:15], v[8:9], v[62:63], -v[14:15]
	v_mul_f64 v[8:9], v[8:9], v[64:65]
	v_fma_f64 v[8:9], v[10:11], v[62:63], v[8:9]
	s_waitcnt lgkmcnt(0)
	v_mul_f64 v[10:11], v[6:7], v[22:23]
	v_fma_f64 v[10:11], v[4:5], v[20:21], -v[10:11]
	v_mul_f64 v[4:5], v[4:5], v[22:23]
	v_add_f64 v[22:23], v[82:83], v[10:11]
	v_fma_f64 v[20:21], v[6:7], v[20:21], v[4:5]
	v_add_f64 v[6:7], v[2:3], v[107:108]
	v_add_f64 v[4:5], v[0:1], v[82:83]
	;; [unrolled: 1-line block ×32, first 2 shown]
	v_add_f64 v[20:21], v[107:108], -v[20:21]
	v_add_f64 v[4:5], v[4:5], v[10:11]
	v_add_f64 v[10:11], v[82:83], -v[10:11]
	v_mul_f64 v[64:65], v[20:21], s[34:35]
	v_mul_f64 v[72:73], v[20:21], s[48:49]
	v_mul_f64 v[107:108], v[20:21], s[54:55]
	v_mul_f64 v[119:120], v[20:21], s[44:45]
	v_mul_f64 v[127:128], v[20:21], s[22:23]
	v_mul_f64 v[135:136], v[20:21], s[30:31]
	v_mul_f64 v[143:144], v[20:21], s[38:39]
	v_mul_f64 v[20:21], v[20:21], s[42:43]
	v_mul_f64 v[68:69], v[10:11], s[34:35]
	v_mul_f64 v[80:81], v[10:11], s[48:49]
	v_mul_f64 v[115:116], v[10:11], s[54:55]
	v_mul_f64 v[123:124], v[10:11], s[44:45]
	v_mul_f64 v[131:132], v[10:11], s[22:23]
	v_mul_f64 v[139:140], v[10:11], s[30:31]
	v_mul_f64 v[147:148], v[10:11], s[38:39]
	v_mul_f64 v[10:11], v[10:11], s[42:43]
	v_fma_f64 v[66:67], v[22:23], s[20:21], -v[64:65]
	v_fma_f64 v[64:65], v[22:23], s[20:21], v[64:65]
	v_fma_f64 v[78:79], v[22:23], s[16:17], -v[72:73]
	v_fma_f64 v[72:73], v[22:23], s[16:17], v[72:73]
	;; [unrolled: 2-line block ×8, first 2 shown]
	v_fma_f64 v[70:71], v[62:63], s[20:21], v[68:69]
	v_fma_f64 v[68:69], v[62:63], s[20:21], -v[68:69]
	v_fma_f64 v[82:83], v[62:63], s[16:17], v[80:81]
	v_fma_f64 v[80:81], v[62:63], s[16:17], -v[80:81]
	;; [unrolled: 2-line block ×3, first 2 shown]
	v_add_f64 v[66:67], v[0:1], v[66:67]
	v_add_f64 v[64:65], v[0:1], v[64:65]
	;; [unrolled: 1-line block ×7, first 2 shown]
	v_fma_f64 v[125:126], v[62:63], s[0:1], v[123:124]
	v_add_f64 v[119:120], v[0:1], v[119:120]
	v_fma_f64 v[123:124], v[62:63], s[0:1], -v[123:124]
	v_add_f64 v[129:130], v[0:1], v[129:130]
	v_fma_f64 v[133:134], v[62:63], s[18:19], v[131:132]
	v_add_f64 v[127:128], v[0:1], v[127:128]
	v_fma_f64 v[131:132], v[62:63], s[18:19], -v[131:132]
	v_add_f64 v[137:138], v[0:1], v[137:138]
	;; [unrolled: 4-line block ×5, first 2 shown]
	v_add_f64 v[8:9], v[111:112], -v[8:9]
	v_add_f64 v[70:71], v[2:3], v[70:71]
	v_add_f64 v[68:69], v[2:3], v[68:69]
	;; [unrolled: 1-line block ×17, first 2 shown]
	v_mul_f64 v[22:23], v[8:9], s[48:49]
	v_add_f64 v[14:15], v[109:110], -v[14:15]
	v_fma_f64 v[62:63], v[10:11], s[16:17], -v[22:23]
	v_fma_f64 v[22:23], v[10:11], s[16:17], v[22:23]
	v_add_f64 v[62:63], v[62:63], v[66:67]
	v_mul_f64 v[66:67], v[14:15], s[48:49]
	v_add_f64 v[22:23], v[22:23], v[64:65]
	v_fma_f64 v[109:110], v[20:21], s[16:17], v[66:67]
	v_fma_f64 v[64:65], v[20:21], s[16:17], -v[66:67]
	v_mul_f64 v[66:67], v[8:9], s[44:45]
	v_add_f64 v[70:71], v[109:110], v[70:71]
	v_add_f64 v[64:65], v[64:65], v[68:69]
	v_fma_f64 v[68:69], v[10:11], s[0:1], -v[66:67]
	v_fma_f64 v[66:67], v[10:11], s[0:1], v[66:67]
	v_add_f64 v[68:69], v[68:69], v[78:79]
	v_mul_f64 v[78:79], v[14:15], s[44:45]
	v_add_f64 v[66:67], v[66:67], v[72:73]
	v_fma_f64 v[109:110], v[20:21], s[0:1], v[78:79]
	v_fma_f64 v[72:73], v[20:21], s[0:1], -v[78:79]
	v_mul_f64 v[78:79], v[8:9], s[30:31]
	v_add_f64 v[82:83], v[109:110], v[82:83]
	v_add_f64 v[72:73], v[72:73], v[80:81]
	v_fma_f64 v[80:81], v[10:11], s[28:29], -v[78:79]
	v_mul_f64 v[109:110], v[14:15], s[30:31]
	v_fma_f64 v[78:79], v[10:11], s[28:29], v[78:79]
	v_add_f64 v[80:81], v[80:81], v[113:114]
	v_fma_f64 v[111:112], v[20:21], s[28:29], v[109:110]
	v_add_f64 v[78:79], v[78:79], v[107:108]
	v_fma_f64 v[107:108], v[20:21], s[28:29], -v[109:110]
	v_mul_f64 v[109:110], v[8:9], s[42:43]
	v_add_f64 v[111:112], v[111:112], v[117:118]
	v_add_f64 v[107:108], v[107:108], v[115:116]
	v_fma_f64 v[113:114], v[10:11], s[40:41], -v[109:110]
	v_fma_f64 v[109:110], v[10:11], s[40:41], v[109:110]
	v_mul_f64 v[115:116], v[14:15], s[42:43]
	v_add_f64 v[113:114], v[113:114], v[121:122]
	v_add_f64 v[109:110], v[109:110], v[119:120]
	v_mul_f64 v[119:120], v[8:9], s[60:61]
	v_fma_f64 v[117:118], v[20:21], s[40:41], v[115:116]
	v_fma_f64 v[115:116], v[20:21], s[40:41], -v[115:116]
	v_fma_f64 v[121:122], v[10:11], s[36:37], -v[119:120]
	v_fma_f64 v[119:120], v[10:11], s[36:37], v[119:120]
	v_add_f64 v[115:116], v[115:116], v[123:124]
	v_mul_f64 v[123:124], v[14:15], s[60:61]
	v_add_f64 v[117:118], v[117:118], v[125:126]
	v_add_f64 v[121:122], v[121:122], v[129:130]
	v_add_f64 v[119:120], v[119:120], v[127:128]
	v_mul_f64 v[127:128], v[8:9], s[56:57]
	v_fma_f64 v[125:126], v[20:21], s[36:37], v[123:124]
	v_fma_f64 v[123:124], v[20:21], s[36:37], -v[123:124]
	v_fma_f64 v[129:130], v[10:11], s[18:19], -v[127:128]
	v_fma_f64 v[127:128], v[10:11], s[18:19], v[127:128]
	v_add_f64 v[123:124], v[123:124], v[131:132]
	v_mul_f64 v[131:132], v[14:15], s[56:57]
	v_add_f64 v[125:126], v[125:126], v[133:134]
	v_add_f64 v[129:130], v[129:130], v[137:138]
	;; [unrolled: 1-line block ×3, first 2 shown]
	v_mul_f64 v[135:136], v[8:9], s[46:47]
	v_fma_f64 v[133:134], v[20:21], s[18:19], v[131:132]
	v_fma_f64 v[131:132], v[20:21], s[18:19], -v[131:132]
	v_mul_f64 v[8:9], v[8:9], s[50:51]
	v_fma_f64 v[137:138], v[10:11], s[14:15], -v[135:136]
	v_fma_f64 v[135:136], v[10:11], s[14:15], v[135:136]
	v_add_f64 v[131:132], v[131:132], v[139:140]
	v_mul_f64 v[139:140], v[14:15], s[46:47]
	v_mul_f64 v[14:15], v[14:15], s[50:51]
	v_add_f64 v[133:134], v[133:134], v[141:142]
	v_add_f64 v[137:138], v[137:138], v[145:146]
	;; [unrolled: 1-line block ×3, first 2 shown]
	v_fma_f64 v[143:144], v[10:11], s[20:21], -v[8:9]
	v_fma_f64 v[8:9], v[10:11], s[20:21], v[8:9]
	v_add_f64 v[10:11], v[60:61], v[12:13]
	v_add_f64 v[12:13], v[60:61], -v[12:13]
	v_fma_f64 v[145:146], v[20:21], s[20:21], v[14:15]
	v_fma_f64 v[141:142], v[20:21], s[14:15], v[139:140]
	v_fma_f64 v[139:140], v[20:21], s[14:15], -v[139:140]
	v_add_f64 v[143:144], v[143:144], v[151:152]
	v_add_f64 v[0:1], v[8:9], v[0:1]
	v_fma_f64 v[8:9], v[20:21], s[20:21], -v[14:15]
	v_add_f64 v[14:15], v[58:59], -v[18:19]
	v_add_f64 v[145:146], v[145:146], v[153:154]
	v_add_f64 v[141:142], v[141:142], v[149:150]
	;; [unrolled: 1-line block ×5, first 2 shown]
	v_mul_f64 v[18:19], v[12:13], s[54:55]
	v_mul_f64 v[58:59], v[14:15], s[54:55]
	v_fma_f64 v[20:21], v[8:9], s[14:15], -v[18:19]
	v_fma_f64 v[18:19], v[8:9], s[14:15], v[18:19]
	v_fma_f64 v[60:61], v[10:11], s[14:15], v[58:59]
	v_add_f64 v[20:21], v[20:21], v[62:63]
	v_add_f64 v[18:19], v[18:19], v[22:23]
	v_fma_f64 v[22:23], v[10:11], s[14:15], -v[58:59]
	v_mul_f64 v[58:59], v[12:13], s[30:31]
	v_add_f64 v[60:61], v[60:61], v[70:71]
	v_add_f64 v[22:23], v[22:23], v[64:65]
	v_fma_f64 v[62:63], v[8:9], s[28:29], -v[58:59]
	v_fma_f64 v[58:59], v[8:9], s[28:29], v[58:59]
	v_mul_f64 v[64:65], v[14:15], s[30:31]
	v_add_f64 v[62:63], v[62:63], v[68:69]
	v_add_f64 v[58:59], v[58:59], v[66:67]
	v_mul_f64 v[66:67], v[12:13], s[64:65]
	v_fma_f64 v[68:69], v[10:11], s[28:29], v[64:65]
	v_fma_f64 v[64:65], v[10:11], s[28:29], -v[64:65]
	v_fma_f64 v[70:71], v[8:9], s[40:41], -v[66:67]
	v_fma_f64 v[66:67], v[8:9], s[40:41], v[66:67]
	v_add_f64 v[64:65], v[64:65], v[72:73]
	v_mul_f64 v[72:73], v[14:15], s[64:65]
	v_add_f64 v[68:69], v[68:69], v[82:83]
	v_add_f64 v[70:71], v[70:71], v[80:81]
	v_add_f64 v[66:67], v[66:67], v[78:79]
	v_mul_f64 v[78:79], v[12:13], s[56:57]
	v_fma_f64 v[80:81], v[10:11], s[40:41], v[72:73]
	v_fma_f64 v[72:73], v[10:11], s[40:41], -v[72:73]
	v_fma_f64 v[82:83], v[8:9], s[18:19], -v[78:79]
	v_fma_f64 v[78:79], v[8:9], s[18:19], v[78:79]
	v_add_f64 v[72:73], v[72:73], v[107:108]
	v_mul_f64 v[107:108], v[14:15], s[56:57]
	v_add_f64 v[80:81], v[80:81], v[111:112]
	;; [unrolled: 10-line block ×4, first 2 shown]
	v_add_f64 v[121:122], v[121:122], v[129:130]
	v_add_f64 v[119:120], v[119:120], v[127:128]
	v_mul_f64 v[127:128], v[12:13], s[44:45]
	v_fma_f64 v[125:126], v[10:11], s[20:21], v[123:124]
	v_fma_f64 v[123:124], v[10:11], s[20:21], -v[123:124]
	v_mul_f64 v[12:13], v[12:13], s[38:39]
	v_fma_f64 v[129:130], v[8:9], s[0:1], -v[127:128]
	v_fma_f64 v[127:128], v[8:9], s[0:1], v[127:128]
	v_add_f64 v[123:124], v[123:124], v[131:132]
	v_mul_f64 v[131:132], v[14:15], s[44:45]
	v_mul_f64 v[14:15], v[14:15], s[38:39]
	v_add_f64 v[125:126], v[125:126], v[133:134]
	v_add_f64 v[129:130], v[129:130], v[137:138]
	v_add_f64 v[127:128], v[127:128], v[135:136]
	v_fma_f64 v[135:136], v[8:9], s[36:37], -v[12:13]
	v_fma_f64 v[8:9], v[8:9], s[36:37], v[12:13]
	v_fma_f64 v[137:138], v[10:11], s[36:37], v[14:15]
	;; [unrolled: 1-line block ×3, first 2 shown]
	v_fma_f64 v[131:132], v[10:11], s[0:1], -v[131:132]
	v_add_f64 v[12:13], v[54:55], -v[76:77]
	v_add_f64 v[135:136], v[135:136], v[143:144]
	v_add_f64 v[0:1], v[8:9], v[0:1]
	v_fma_f64 v[8:9], v[10:11], s[36:37], -v[14:15]
	v_add_f64 v[14:15], v[56:57], -v[16:17]
	v_add_f64 v[10:11], v[56:57], v[16:17]
	v_add_f64 v[131:132], v[131:132], v[139:140]
	;; [unrolled: 1-line block ×6, first 2 shown]
	v_mul_f64 v[16:17], v[14:15], s[44:45]
	v_mul_f64 v[76:77], v[12:13], s[50:51]
	v_fma_f64 v[54:55], v[8:9], s[0:1], -v[16:17]
	v_fma_f64 v[16:17], v[8:9], s[0:1], v[16:17]
	v_add_f64 v[20:21], v[54:55], v[20:21]
	v_mul_f64 v[54:55], v[12:13], s[44:45]
	v_add_f64 v[16:17], v[16:17], v[18:19]
	v_fma_f64 v[18:19], v[10:11], s[0:1], -v[54:55]
	v_fma_f64 v[56:57], v[10:11], s[0:1], v[54:55]
	v_add_f64 v[18:19], v[18:19], v[22:23]
	v_mul_f64 v[22:23], v[14:15], s[42:43]
	v_add_f64 v[56:57], v[56:57], v[60:61]
	v_mul_f64 v[60:61], v[12:13], s[42:43]
	v_fma_f64 v[54:55], v[8:9], s[40:41], -v[22:23]
	v_fma_f64 v[22:23], v[8:9], s[40:41], v[22:23]
	v_add_f64 v[54:55], v[54:55], v[62:63]
	v_fma_f64 v[62:63], v[10:11], s[40:41], v[60:61]
	v_add_f64 v[22:23], v[22:23], v[58:59]
	v_fma_f64 v[58:59], v[10:11], s[40:41], -v[60:61]
	v_mul_f64 v[60:61], v[14:15], s[56:57]
	v_add_f64 v[62:63], v[62:63], v[68:69]
	v_mul_f64 v[68:69], v[12:13], s[56:57]
	v_add_f64 v[58:59], v[58:59], v[64:65]
	v_fma_f64 v[64:65], v[8:9], s[18:19], -v[60:61]
	v_fma_f64 v[60:61], v[8:9], s[18:19], v[60:61]
	v_add_f64 v[64:65], v[64:65], v[70:71]
	v_fma_f64 v[70:71], v[10:11], s[18:19], v[68:69]
	v_add_f64 v[60:61], v[60:61], v[66:67]
	v_fma_f64 v[66:67], v[10:11], s[18:19], -v[68:69]
	v_mul_f64 v[68:69], v[14:15], s[50:51]
	v_add_f64 v[70:71], v[70:71], v[80:81]
	v_fma_f64 v[80:81], v[10:11], s[20:21], v[76:77]
	v_add_f64 v[66:67], v[66:67], v[72:73]
	v_fma_f64 v[72:73], v[8:9], s[20:21], -v[68:69]
	v_fma_f64 v[68:69], v[8:9], s[20:21], v[68:69]
	v_fma_f64 v[76:77], v[10:11], s[20:21], -v[76:77]
	v_add_f64 v[80:81], v[80:81], v[111:112]
	v_add_f64 v[72:73], v[72:73], v[82:83]
	;; [unrolled: 1-line block ×3, first 2 shown]
	v_mul_f64 v[78:79], v[14:15], s[54:55]
	v_add_f64 v[76:77], v[76:77], v[107:108]
	v_mul_f64 v[107:108], v[12:13], s[54:55]
	v_fma_f64 v[82:83], v[8:9], s[14:15], -v[78:79]
	v_fma_f64 v[78:79], v[8:9], s[14:15], v[78:79]
	v_fma_f64 v[111:112], v[10:11], s[14:15], v[107:108]
	v_fma_f64 v[107:108], v[10:11], s[14:15], -v[107:108]
	v_add_f64 v[82:83], v[82:83], v[113:114]
	v_add_f64 v[78:79], v[78:79], v[109:110]
	v_mul_f64 v[109:110], v[14:15], s[38:39]
	v_add_f64 v[107:108], v[107:108], v[115:116]
	v_mul_f64 v[115:116], v[12:13], s[38:39]
	v_add_f64 v[111:112], v[111:112], v[117:118]
	v_fma_f64 v[113:114], v[8:9], s[36:37], -v[109:110]
	v_fma_f64 v[109:110], v[8:9], s[36:37], v[109:110]
	v_fma_f64 v[117:118], v[10:11], s[36:37], v[115:116]
	v_fma_f64 v[115:116], v[10:11], s[36:37], -v[115:116]
	v_add_f64 v[113:114], v[113:114], v[121:122]
	v_add_f64 v[109:110], v[109:110], v[119:120]
	v_mul_f64 v[119:120], v[14:15], s[62:63]
	v_mul_f64 v[14:15], v[14:15], s[52:53]
	v_add_f64 v[115:116], v[115:116], v[123:124]
	v_mul_f64 v[123:124], v[12:13], s[62:63]
	v_mul_f64 v[12:13], v[12:13], s[52:53]
	v_add_f64 v[117:118], v[117:118], v[125:126]
	v_fma_f64 v[121:122], v[8:9], s[28:29], -v[119:120]
	v_fma_f64 v[119:120], v[8:9], s[28:29], v[119:120]
	v_fma_f64 v[125:126], v[10:11], s[28:29], v[123:124]
	v_fma_f64 v[123:124], v[10:11], s[28:29], -v[123:124]
	v_add_f64 v[121:122], v[121:122], v[129:130]
	v_add_f64 v[119:120], v[119:120], v[127:128]
	v_fma_f64 v[127:128], v[8:9], s[16:17], -v[14:15]
	v_fma_f64 v[8:9], v[8:9], s[16:17], v[14:15]
	v_add_f64 v[14:15], v[52:53], -v[74:75]
	v_fma_f64 v[129:130], v[10:11], s[16:17], v[12:13]
	v_add_f64 v[123:124], v[123:124], v[131:132]
	v_add_f64 v[125:126], v[125:126], v[133:134]
	;; [unrolled: 1-line block ×4, first 2 shown]
	v_fma_f64 v[8:9], v[10:11], s[16:17], -v[12:13]
	v_add_f64 v[12:13], v[50:51], -v[26:27]
	v_add_f64 v[10:11], v[52:53], v[74:75]
	v_add_f64 v[129:130], v[129:130], v[137:138]
	;; [unrolled: 1-line block ×4, first 2 shown]
	v_mul_f64 v[26:27], v[14:15], s[22:23]
	v_fma_f64 v[50:51], v[8:9], s[18:19], -v[26:27]
	v_fma_f64 v[26:27], v[8:9], s[18:19], v[26:27]
	v_add_f64 v[20:21], v[50:51], v[20:21]
	v_mul_f64 v[50:51], v[12:13], s[22:23]
	v_add_f64 v[16:17], v[26:27], v[16:17]
	v_fma_f64 v[26:27], v[10:11], s[18:19], -v[50:51]
	v_fma_f64 v[52:53], v[10:11], s[18:19], v[50:51]
	v_add_f64 v[18:19], v[26:27], v[18:19]
	v_mul_f64 v[26:27], v[14:15], s[60:61]
	v_add_f64 v[52:53], v[52:53], v[56:57]
	;; [unrolled: 5-line block ×3, first 2 shown]
	v_fma_f64 v[56:57], v[10:11], s[36:37], v[54:55]
	v_fma_f64 v[26:27], v[10:11], s[36:37], -v[54:55]
	v_mul_f64 v[54:55], v[14:15], s[52:53]
	v_add_f64 v[56:57], v[56:57], v[62:63]
	v_add_f64 v[26:27], v[26:27], v[58:59]
	v_fma_f64 v[58:59], v[8:9], s[16:17], -v[54:55]
	v_mul_f64 v[62:63], v[12:13], s[52:53]
	v_fma_f64 v[54:55], v[8:9], s[16:17], v[54:55]
	v_add_f64 v[58:59], v[58:59], v[64:65]
	v_fma_f64 v[64:65], v[10:11], s[16:17], v[62:63]
	v_add_f64 v[54:55], v[54:55], v[60:61]
	v_fma_f64 v[60:61], v[10:11], s[16:17], -v[62:63]
	v_mul_f64 v[62:63], v[14:15], s[54:55]
	v_add_f64 v[64:65], v[64:65], v[70:71]
	v_mul_f64 v[70:71], v[12:13], s[54:55]
	v_add_f64 v[60:61], v[60:61], v[66:67]
	v_fma_f64 v[66:67], v[8:9], s[14:15], -v[62:63]
	v_fma_f64 v[62:63], v[8:9], s[14:15], v[62:63]
	v_add_f64 v[66:67], v[66:67], v[72:73]
	v_fma_f64 v[72:73], v[10:11], s[14:15], v[70:71]
	v_add_f64 v[62:63], v[62:63], v[68:69]
	v_fma_f64 v[68:69], v[10:11], s[14:15], -v[70:71]
	v_mul_f64 v[70:71], v[14:15], s[42:43]
	v_add_f64 v[72:73], v[72:73], v[80:81]
	v_add_f64 v[68:69], v[68:69], v[76:77]
	v_fma_f64 v[74:75], v[8:9], s[40:41], -v[70:71]
	v_fma_f64 v[70:71], v[8:9], s[40:41], v[70:71]
	v_mul_f64 v[76:77], v[12:13], s[42:43]
	v_add_f64 v[74:75], v[74:75], v[82:83]
	v_add_f64 v[70:71], v[70:71], v[78:79]
	v_mul_f64 v[78:79], v[14:15], s[58:59]
	v_fma_f64 v[80:81], v[10:11], s[40:41], v[76:77]
	v_fma_f64 v[76:77], v[10:11], s[40:41], -v[76:77]
	v_fma_f64 v[82:83], v[8:9], s[0:1], -v[78:79]
	v_fma_f64 v[78:79], v[8:9], s[0:1], v[78:79]
	v_add_f64 v[76:77], v[76:77], v[107:108]
	v_mul_f64 v[107:108], v[12:13], s[58:59]
	v_add_f64 v[80:81], v[80:81], v[111:112]
	v_add_f64 v[82:83], v[82:83], v[113:114]
	;; [unrolled: 1-line block ×3, first 2 shown]
	v_mul_f64 v[109:110], v[14:15], s[34:35]
	v_fma_f64 v[111:112], v[10:11], s[0:1], v[107:108]
	v_fma_f64 v[107:108], v[10:11], s[0:1], -v[107:108]
	v_mul_f64 v[14:15], v[14:15], s[30:31]
	v_fma_f64 v[113:114], v[8:9], s[20:21], -v[109:110]
	v_fma_f64 v[109:110], v[8:9], s[20:21], v[109:110]
	v_add_f64 v[107:108], v[107:108], v[115:116]
	v_mul_f64 v[115:116], v[12:13], s[34:35]
	v_mul_f64 v[12:13], v[12:13], s[30:31]
	v_add_f64 v[111:112], v[111:112], v[117:118]
	v_add_f64 v[113:114], v[113:114], v[121:122]
	;; [unrolled: 1-line block ×3, first 2 shown]
	v_fma_f64 v[119:120], v[8:9], s[28:29], -v[14:15]
	v_fma_f64 v[8:9], v[8:9], s[28:29], v[14:15]
	v_add_f64 v[14:15], v[48:49], -v[24:25]
	v_fma_f64 v[117:118], v[10:11], s[20:21], v[115:116]
	v_fma_f64 v[115:116], v[10:11], s[20:21], -v[115:116]
	v_fma_f64 v[121:122], v[10:11], s[28:29], v[12:13]
	v_add_f64 v[119:120], v[119:120], v[127:128]
	v_add_f64 v[0:1], v[8:9], v[0:1]
	v_fma_f64 v[8:9], v[10:11], s[28:29], -v[12:13]
	v_add_f64 v[10:11], v[48:49], v[24:25]
	v_mul_f64 v[24:25], v[14:15], s[30:31]
	v_add_f64 v[12:13], v[46:47], -v[30:31]
	v_add_f64 v[115:116], v[115:116], v[123:124]
	v_add_f64 v[117:118], v[117:118], v[125:126]
	;; [unrolled: 1-line block ×5, first 2 shown]
	v_add_f64 v[36:37], v[36:37], -v[44:45]
	v_add_f64 v[38:39], v[38:39], -v[32:33]
	v_add_f64 v[2:3], v[8:9], v[2:3]
	v_add_f64 v[8:9], v[46:47], v[30:31]
	v_mul_f64 v[48:49], v[12:13], s[56:57]
	v_mul_f64 v[32:33], v[36:37], s[46:47]
	v_fma_f64 v[30:31], v[8:9], s[28:29], -v[24:25]
	v_fma_f64 v[24:25], v[8:9], s[28:29], v[24:25]
	v_add_f64 v[20:21], v[30:31], v[20:21]
	v_mul_f64 v[30:31], v[12:13], s[30:31]
	v_add_f64 v[16:17], v[24:25], v[16:17]
	v_fma_f64 v[24:25], v[10:11], s[28:29], -v[30:31]
	v_fma_f64 v[46:47], v[10:11], s[28:29], v[30:31]
	v_add_f64 v[18:19], v[24:25], v[18:19]
	v_mul_f64 v[24:25], v[14:15], s[56:57]
	v_add_f64 v[46:47], v[46:47], v[52:53]
	v_mul_f64 v[52:53], v[12:13], s[34:35]
	v_fma_f64 v[30:31], v[8:9], s[18:19], -v[24:25]
	v_fma_f64 v[24:25], v[8:9], s[18:19], v[24:25]
	v_add_f64 v[30:31], v[30:31], v[50:51]
	v_add_f64 v[22:23], v[24:25], v[22:23]
	v_fma_f64 v[24:25], v[10:11], s[18:19], -v[48:49]
	v_fma_f64 v[50:51], v[10:11], s[18:19], v[48:49]
	v_add_f64 v[24:25], v[24:25], v[26:27]
	v_mul_f64 v[26:27], v[14:15], s[34:35]
	v_add_f64 v[50:51], v[50:51], v[56:57]
	v_fma_f64 v[56:57], v[10:11], s[20:21], v[52:53]
	v_fma_f64 v[52:53], v[10:11], s[20:21], -v[52:53]
	v_fma_f64 v[48:49], v[8:9], s[20:21], -v[26:27]
	v_fma_f64 v[26:27], v[8:9], s[20:21], v[26:27]
	v_add_f64 v[56:57], v[56:57], v[64:65]
	v_add_f64 v[52:53], v[52:53], v[60:61]
	v_mul_f64 v[60:61], v[12:13], s[38:39]
	v_add_f64 v[48:49], v[48:49], v[58:59]
	v_add_f64 v[26:27], v[26:27], v[54:55]
	v_mul_f64 v[54:55], v[14:15], s[38:39]
	v_fma_f64 v[64:65], v[10:11], s[36:37], v[60:61]
	v_fma_f64 v[60:61], v[10:11], s[36:37], -v[60:61]
	v_fma_f64 v[58:59], v[8:9], s[36:37], -v[54:55]
	v_fma_f64 v[54:55], v[8:9], s[36:37], v[54:55]
	v_add_f64 v[64:65], v[64:65], v[72:73]
	v_add_f64 v[60:61], v[60:61], v[68:69]
	v_mul_f64 v[68:69], v[12:13], s[58:59]
	v_add_f64 v[58:59], v[58:59], v[66:67]
	v_add_f64 v[54:55], v[54:55], v[62:63]
	v_mul_f64 v[62:63], v[14:15], s[58:59]
	;; [unrolled: 10-line block ×3, first 2 shown]
	v_fma_f64 v[80:81], v[10:11], s[16:17], v[76:77]
	v_fma_f64 v[76:77], v[10:11], s[16:17], -v[76:77]
	v_fma_f64 v[74:75], v[8:9], s[16:17], -v[70:71]
	v_fma_f64 v[70:71], v[8:9], s[16:17], v[70:71]
	v_add_f64 v[80:81], v[80:81], v[111:112]
	v_add_f64 v[76:77], v[76:77], v[107:108]
	v_mul_f64 v[107:108], v[12:13], s[42:43]
	v_mul_f64 v[12:13], v[12:13], s[46:47]
	v_add_f64 v[74:75], v[74:75], v[82:83]
	v_add_f64 v[70:71], v[70:71], v[78:79]
	v_mul_f64 v[78:79], v[14:15], s[42:43]
	v_mul_f64 v[14:15], v[14:15], s[46:47]
	v_fma_f64 v[111:112], v[10:11], s[40:41], v[107:108]
	v_fma_f64 v[107:108], v[10:11], s[40:41], -v[107:108]
	v_fma_f64 v[82:83], v[8:9], s[40:41], -v[78:79]
	v_fma_f64 v[78:79], v[8:9], s[40:41], v[78:79]
	v_add_f64 v[111:112], v[111:112], v[117:118]
	v_add_f64 v[107:108], v[107:108], v[115:116]
	;; [unrolled: 1-line block ×4, first 2 shown]
	v_fma_f64 v[109:110], v[8:9], s[14:15], -v[14:15]
	v_fma_f64 v[8:9], v[8:9], s[14:15], v[14:15]
	v_add_f64 v[14:15], v[42:43], -v[28:29]
	v_fma_f64 v[113:114], v[10:11], s[14:15], v[12:13]
	v_add_f64 v[109:110], v[109:110], v[119:120]
	v_add_f64 v[0:1], v[8:9], v[0:1]
	v_fma_f64 v[8:9], v[10:11], s[14:15], -v[12:13]
	v_add_f64 v[10:11], v[42:43], v[28:29]
	v_mul_f64 v[28:29], v[14:15], s[38:39]
	v_add_f64 v[12:13], v[40:41], -v[34:35]
	v_add_f64 v[113:114], v[113:114], v[121:122]
	v_add_f64 v[2:3], v[8:9], v[2:3]
	;; [unrolled: 1-line block ×3, first 2 shown]
	v_fma_f64 v[34:35], v[8:9], s[36:37], -v[28:29]
	v_fma_f64 v[28:29], v[8:9], s[36:37], v[28:29]
	v_add_f64 v[20:21], v[34:35], v[20:21]
	v_mul_f64 v[34:35], v[12:13], s[38:39]
	v_add_f64 v[16:17], v[28:29], v[16:17]
	v_fma_f64 v[28:29], v[10:11], s[36:37], -v[34:35]
	v_fma_f64 v[40:41], v[10:11], s[36:37], v[34:35]
	v_add_f64 v[18:19], v[28:29], v[18:19]
	v_mul_f64 v[28:29], v[14:15], s[46:47]
	v_add_f64 v[40:41], v[40:41], v[46:47]
	v_mul_f64 v[46:47], v[12:13], s[44:45]
	v_fma_f64 v[34:35], v[8:9], s[14:15], -v[28:29]
	v_fma_f64 v[28:29], v[8:9], s[14:15], v[28:29]
	v_add_f64 v[30:31], v[34:35], v[30:31]
	v_mul_f64 v[34:35], v[12:13], s[46:47]
	v_add_f64 v[22:23], v[28:29], v[22:23]
	v_fma_f64 v[28:29], v[10:11], s[14:15], -v[34:35]
	v_fma_f64 v[42:43], v[10:11], s[14:15], v[34:35]
	v_add_f64 v[24:25], v[28:29], v[24:25]
	v_mul_f64 v[28:29], v[14:15], s[44:45]
	v_add_f64 v[42:43], v[42:43], v[50:51]
	v_fma_f64 v[34:35], v[8:9], s[0:1], -v[28:29]
	v_fma_f64 v[28:29], v[8:9], s[0:1], v[28:29]
	v_add_f64 v[34:35], v[34:35], v[48:49]
	v_fma_f64 v[48:49], v[10:11], s[0:1], v[46:47]
	v_add_f64 v[26:27], v[28:29], v[26:27]
	v_fma_f64 v[28:29], v[10:11], s[0:1], -v[46:47]
	v_mul_f64 v[46:47], v[14:15], s[62:63]
	v_add_f64 v[48:49], v[48:49], v[56:57]
	v_add_f64 v[28:29], v[28:29], v[52:53]
	v_fma_f64 v[50:51], v[8:9], s[28:29], -v[46:47]
	v_fma_f64 v[46:47], v[8:9], s[28:29], v[46:47]
	v_mul_f64 v[52:53], v[12:13], s[62:63]
	v_add_f64 v[50:51], v[50:51], v[58:59]
	v_add_f64 v[46:47], v[46:47], v[54:55]
	v_mul_f64 v[54:55], v[14:15], s[34:35]
	v_fma_f64 v[56:57], v[10:11], s[28:29], v[52:53]
	v_fma_f64 v[52:53], v[10:11], s[28:29], -v[52:53]
	v_fma_f64 v[58:59], v[8:9], s[20:21], -v[54:55]
	v_fma_f64 v[54:55], v[8:9], s[20:21], v[54:55]
	v_add_f64 v[52:53], v[52:53], v[60:61]
	v_add_f64 v[56:57], v[56:57], v[64:65]
	;; [unrolled: 1-line block ×3, first 2 shown]
	v_mul_f64 v[58:59], v[12:13], s[34:35]
	v_add_f64 v[117:118], v[54:55], v[62:63]
	v_fma_f64 v[54:55], v[10:11], s[20:21], -v[58:59]
	v_fma_f64 v[60:61], v[10:11], s[20:21], v[58:59]
	v_add_f64 v[119:120], v[54:55], v[68:69]
	v_mul_f64 v[54:55], v[14:15], s[42:43]
	v_add_f64 v[72:73], v[60:61], v[72:73]
	v_fma_f64 v[58:59], v[8:9], s[40:41], -v[54:55]
	v_fma_f64 v[54:55], v[8:9], s[40:41], v[54:55]
	v_add_f64 v[74:75], v[58:59], v[74:75]
	;; [unrolled: 5-line block ×3, first 2 shown]
	v_mul_f64 v[54:55], v[14:15], s[52:53]
	v_mul_f64 v[14:15], v[14:15], s[22:23]
	v_add_f64 v[80:81], v[60:61], v[80:81]
	v_fma_f64 v[58:59], v[8:9], s[16:17], -v[54:55]
	v_fma_f64 v[54:55], v[8:9], s[16:17], v[54:55]
	v_add_f64 v[82:83], v[58:59], v[82:83]
	v_mul_f64 v[58:59], v[12:13], s[52:53]
	v_add_f64 v[78:79], v[54:55], v[78:79]
	v_mul_f64 v[12:13], v[12:13], s[22:23]
	v_fma_f64 v[54:55], v[10:11], s[16:17], -v[58:59]
	v_fma_f64 v[60:61], v[10:11], s[16:17], v[58:59]
	v_add_f64 v[107:108], v[54:55], v[107:108]
	v_fma_f64 v[54:55], v[8:9], s[18:19], -v[14:15]
	v_fma_f64 v[8:9], v[8:9], s[18:19], v[14:15]
	v_add_f64 v[111:112], v[60:61], v[111:112]
	v_add_f64 v[109:110], v[54:55], v[109:110]
	v_fma_f64 v[54:55], v[10:11], s[18:19], v[12:13]
	v_add_f64 v[0:1], v[8:9], v[0:1]
	v_fma_f64 v[8:9], v[10:11], s[18:19], -v[12:13]
	v_mul_f64 v[10:11], v[38:39], s[42:43]
	v_mul_f64 v[12:13], v[36:37], s[42:43]
	v_add_f64 v[113:114], v[54:55], v[113:114]
	v_add_f64 v[2:3], v[8:9], v[2:3]
	v_fma_f64 v[8:9], v[123:124], s[40:41], -v[10:11]
	v_fma_f64 v[14:15], v[125:126], s[40:41], v[12:13]
	v_fma_f64 v[10:11], v[123:124], s[40:41], v[10:11]
	v_add_f64 v[8:9], v[8:9], v[20:21]
	v_add_f64 v[70:71], v[14:15], v[40:41]
	;; [unrolled: 1-line block ×3, first 2 shown]
	v_fma_f64 v[10:11], v[125:126], s[40:41], -v[12:13]
	v_mul_f64 v[14:15], v[38:39], s[50:51]
	v_mul_f64 v[16:17], v[36:37], s[50:51]
	v_mul_f64 v[20:21], v[36:37], s[38:39]
	v_mul_f64 v[40:41], v[36:37], s[22:23]
	v_add_f64 v[64:65], v[10:11], v[18:19]
	v_fma_f64 v[10:11], v[123:124], s[20:21], -v[14:15]
	v_fma_f64 v[14:15], v[123:124], s[20:21], v[14:15]
	v_mul_f64 v[18:19], v[38:39], s[38:39]
	v_fma_f64 v[12:13], v[125:126], s[20:21], v[16:17]
	v_add_f64 v[10:11], v[10:11], v[30:31]
	v_add_f64 v[62:63], v[14:15], v[22:23]
	v_fma_f64 v[14:15], v[125:126], s[20:21], -v[16:17]
	v_mul_f64 v[22:23], v[38:39], s[52:53]
	v_fma_f64 v[16:17], v[125:126], s[36:37], v[20:21]
	v_mul_f64 v[30:31], v[38:39], s[46:47]
	v_add_f64 v[12:13], v[12:13], v[42:43]
	v_add_f64 v[68:69], v[14:15], v[24:25]
	v_fma_f64 v[14:15], v[123:124], s[36:37], -v[18:19]
	v_fma_f64 v[18:19], v[123:124], s[36:37], v[18:19]
	v_mul_f64 v[24:25], v[36:37], s[52:53]
	v_add_f64 v[16:17], v[16:17], v[48:49]
	v_add_f64 v[14:15], v[14:15], v[34:35]
	;; [unrolled: 1-line block ×3, first 2 shown]
	v_fma_f64 v[18:19], v[125:126], s[36:37], -v[20:21]
	v_fma_f64 v[20:21], v[125:126], s[16:17], v[24:25]
	v_mul_f64 v[26:27], v[38:39], s[30:31]
	v_mul_f64 v[34:35], v[38:39], s[22:23]
	;; [unrolled: 1-line block ×3, first 2 shown]
	v_add_f64 v[60:61], v[18:19], v[28:29]
	v_fma_f64 v[18:19], v[123:124], s[16:17], -v[22:23]
	v_fma_f64 v[22:23], v[123:124], s[16:17], v[22:23]
	v_add_f64 v[20:21], v[20:21], v[56:57]
	v_mul_f64 v[28:29], v[36:37], s[30:31]
	v_add_f64 v[18:19], v[18:19], v[50:51]
	v_add_f64 v[54:55], v[22:23], v[46:47]
	v_fma_f64 v[22:23], v[125:126], s[16:17], -v[24:25]
	v_fma_f64 v[24:25], v[125:126], s[28:29], v[28:29]
	v_add_f64 v[56:57], v[22:23], v[52:53]
	v_fma_f64 v[22:23], v[123:124], s[28:29], -v[26:27]
	v_fma_f64 v[26:27], v[123:124], s[28:29], v[26:27]
	v_add_f64 v[24:25], v[24:25], v[72:73]
	v_mul_lo_u32 v73, v105, v106
	v_mov_b32_e32 v72, 4
	v_add_f64 v[22:23], v[22:23], v[115:116]
	v_add_f64 v[50:51], v[26:27], v[117:118]
	v_fma_f64 v[26:27], v[125:126], s[28:29], -v[28:29]
	v_fma_f64 v[28:29], v[125:126], s[14:15], v[32:33]
	v_add_f64 v[52:53], v[26:27], v[119:120]
	v_fma_f64 v[26:27], v[123:124], s[14:15], -v[30:31]
	v_fma_f64 v[30:31], v[123:124], s[14:15], v[30:31]
	v_add_f64 v[28:29], v[28:29], v[80:81]
	v_add_f64 v[26:27], v[26:27], v[74:75]
	v_add_f64 v[46:47], v[30:31], v[121:122]
	v_fma_f64 v[30:31], v[125:126], s[14:15], -v[32:33]
	v_fma_f64 v[32:33], v[125:126], s[18:19], v[40:41]
	v_add_f64 v[48:49], v[30:31], v[76:77]
	v_fma_f64 v[30:31], v[123:124], s[18:19], -v[34:35]
	v_fma_f64 v[34:35], v[123:124], s[18:19], v[34:35]
	v_add_f64 v[32:33], v[32:33], v[111:112]
	v_add_f64 v[30:31], v[30:31], v[82:83]
	;; [unrolled: 1-line block ×3, first 2 shown]
	v_fma_f64 v[34:35], v[125:126], s[18:19], -v[40:41]
	v_mul_f64 v[40:41], v[36:37], s[58:59]
	v_add_f64 v[44:45], v[34:35], v[107:108]
	v_fma_f64 v[34:35], v[123:124], s[0:1], -v[38:39]
	v_fma_f64 v[38:39], v[123:124], s[0:1], v[38:39]
	v_fma_f64 v[36:37], v[125:126], s[0:1], v[40:41]
	v_add_f64 v[34:35], v[34:35], v[109:110]
	v_add_f64 v[38:39], v[38:39], v[0:1]
	v_fma_f64 v[0:1], v[125:126], s[0:1], -v[40:41]
	v_add_f64 v[36:37], v[36:37], v[113:114]
	v_add_f64 v[40:41], v[0:1], v[2:3]
	v_lshlrev_b32_sdwa v0, v72, v73 dst_sel:DWORD dst_unused:UNUSED_PAD src0_sel:DWORD src1_sel:BYTE_0
	v_bfe_u32 v73, v73, 8, 8
	global_load_dwordx4 v[0:3], v0, s[12:13]
	v_lshl_or_b32 v73, v73, 4, 0x1000
	global_load_dwordx4 v[73:76], v73, s[12:13]
	s_waitcnt vmcnt(0)
	v_mul_f64 v[77:78], v[2:3], v[75:76]
	v_fma_f64 v[77:78], v[0:1], v[73:74], -v[77:78]
	v_mul_f64 v[0:1], v[0:1], v[75:76]
	v_fma_f64 v[2:3], v[2:3], v[73:74], v[0:1]
	v_mul_f64 v[0:1], v[6:7], v[2:3]
	v_mul_f64 v[2:3], v[4:5], v[2:3]
	v_fma_f64 v[0:1], v[4:5], v[77:78], -v[0:1]
	v_add_nc_u32_e32 v4, 17, v106
	v_fma_f64 v[2:3], v[6:7], v[77:78], v[2:3]
	v_mul_lo_u32 v73, v105, v4
	v_lshlrev_b32_sdwa v4, v72, v73 dst_sel:DWORD dst_unused:UNUSED_PAD src0_sel:DWORD src1_sel:BYTE_0
	v_bfe_u32 v73, v73, 8, 8
	global_load_dwordx4 v[4:7], v4, s[12:13]
	v_lshl_or_b32 v73, v73, 4, 0x1000
	global_load_dwordx4 v[73:76], v73, s[12:13]
	s_waitcnt vmcnt(0)
	v_mul_f64 v[77:78], v[6:7], v[75:76]
	v_fma_f64 v[77:78], v[4:5], v[73:74], -v[77:78]
	v_mul_f64 v[4:5], v[4:5], v[75:76]
	v_fma_f64 v[6:7], v[6:7], v[73:74], v[4:5]
	v_mul_f64 v[4:5], v[6:7], v[70:71]
	v_mul_f64 v[6:7], v[6:7], v[8:9]
	v_fma_f64 v[4:5], v[77:78], v[8:9], -v[4:5]
	v_add_nc_u32_e32 v8, 34, v106
	v_fma_f64 v[6:7], v[77:78], v[70:71], v[6:7]
	v_mul_lo_u32 v8, v105, v8
	v_lshlrev_b32_sdwa v9, v72, v8 dst_sel:DWORD dst_unused:UNUSED_PAD src0_sel:DWORD src1_sel:BYTE_0
	v_bfe_u32 v8, v8, 8, 8
	global_load_dwordx4 v[73:76], v9, s[12:13]
	v_lshl_or_b32 v8, v8, 4, 0x1000
	global_load_dwordx4 v[77:80], v8, s[12:13]
	s_waitcnt vmcnt(0)
	v_mul_f64 v[8:9], v[75:76], v[79:80]
	v_fma_f64 v[70:71], v[73:74], v[77:78], -v[8:9]
	v_mul_f64 v[8:9], v[73:74], v[79:80]
	v_fma_f64 v[73:74], v[75:76], v[77:78], v[8:9]
	v_mul_f64 v[8:9], v[12:13], v[73:74]
	v_fma_f64 v[8:9], v[10:11], v[70:71], -v[8:9]
	v_mul_f64 v[10:11], v[10:11], v[73:74]
	v_fma_f64 v[10:11], v[12:13], v[70:71], v[10:11]
	v_add_nc_u32_e32 v12, 51, v106
	v_mul_lo_u32 v12, v105, v12
	v_lshlrev_b32_sdwa v13, v72, v12 dst_sel:DWORD dst_unused:UNUSED_PAD src0_sel:DWORD src1_sel:BYTE_0
	v_bfe_u32 v12, v12, 8, 8
	global_load_dwordx4 v[73:76], v13, s[12:13]
	v_lshl_or_b32 v12, v12, 4, 0x1000
	global_load_dwordx4 v[77:80], v12, s[12:13]
	s_waitcnt vmcnt(0)
	v_mul_f64 v[12:13], v[75:76], v[79:80]
	v_fma_f64 v[70:71], v[73:74], v[77:78], -v[12:13]
	v_mul_f64 v[12:13], v[73:74], v[79:80]
	v_fma_f64 v[73:74], v[75:76], v[77:78], v[12:13]
	v_mul_f64 v[12:13], v[16:17], v[73:74]
	v_fma_f64 v[12:13], v[14:15], v[70:71], -v[12:13]
	v_mul_f64 v[14:15], v[14:15], v[73:74]
	v_fma_f64 v[14:15], v[16:17], v[70:71], v[14:15]
	v_add_nc_u32_e32 v16, 0x44, v106
	;; [unrolled: 16-line block ×14, first 2 shown]
	v_mul_lo_u32 v68, v105, v68
	v_lshlrev_b32_sdwa v69, v72, v68 dst_sel:DWORD dst_unused:UNUSED_PAD src0_sel:DWORD src1_sel:BYTE_0
	v_bfe_u32 v68, v68, 8, 8
	global_load_dwordx4 v[70:73], v69, s[12:13]
	v_lshl_or_b32 v68, v68, 4, 0x1000
	global_load_dwordx4 v[74:77], v68, s[12:13]
	s_waitcnt vmcnt(0)
	s_barrier
	buffer_gl0_inv
	v_mul_f64 v[68:69], v[72:73], v[76:77]
	v_fma_f64 v[68:69], v[70:71], v[74:75], -v[68:69]
	v_mul_f64 v[70:71], v[70:71], v[76:77]
	v_fma_f64 v[70:71], v[72:73], v[74:75], v[70:71]
	v_mul_f64 v[72:73], v[64:65], v[70:71]
	v_fma_f64 v[72:73], v[66:67], v[68:69], -v[72:73]
	v_mul_f64 v[66:67], v[66:67], v[70:71]
	v_fma_f64 v[74:75], v[64:65], v[68:69], v[66:67]
	ds_write_b128 v104, v[0:3]
	ds_write_b128 v104, v[4:7] offset:272
	ds_write_b128 v104, v[8:11] offset:544
	;; [unrolled: 1-line block ×16, first 2 shown]
	s_waitcnt lgkmcnt(0)
	s_barrier
	buffer_gl0_inv
	s_and_saveexec_b32 s0, s25
	s_cbranch_execz .LBB0_16
; %bb.15:
	v_mad_u64_u32 v[4:5], null, s10, v102, 0
	v_mad_u64_u32 v[6:7], null, s8, v99, 0
	s_mul_i32 s1, s7, s24
	s_mul_hi_u32 s7, s6, s24
	v_add3_u32 v25, 0, v103, v101
	s_mul_i32 s0, s6, s24
	v_mov_b32_e32 v0, v5
	s_add_i32 s1, s7, s1
	v_mad_u64_u32 v[11:12], null, s8, v98, 0
	s_lshl_b64 s[0:1], s[0:1], 4
	v_mad_u64_u32 v[8:9], null, s11, v102, v[0:1]
	v_mad_u64_u32 v[9:10], null, s8, v100, 0
	ds_read_b128 v[0:3], v25
	s_add_u32 s2, s2, s0
	s_addc_u32 s3, s3, s1
	s_lshl_b64 s[0:1], s[4:5], 4
	v_mov_b32_e32 v5, v8
	v_mad_u64_u32 v[7:8], null, s9, v99, v[7:8]
	v_mov_b32_e32 v8, v10
	s_add_u32 s0, s2, s0
	v_lshlrev_b64 v[4:5], 4, v[4:5]
	s_addc_u32 s1, s3, s1
	v_mad_u64_u32 v[13:14], null, s8, v97, 0
	v_mad_u64_u32 v[21:22], null, s8, v96, 0
	v_add_co_u32 v26, vcc_lo, s0, v4
	v_add_co_ci_u32_e32 v27, vcc_lo, s1, v5, vcc_lo
	v_lshlrev_b64 v[4:5], 4, v[6:7]
	v_mad_u64_u32 v[6:7], null, s9, v100, v[8:9]
	v_mov_b32_e32 v7, v12
	v_add_co_u32 v15, vcc_lo, v26, v4
	v_add_co_ci_u32_e32 v16, vcc_lo, v27, v5, vcc_lo
	v_mov_b32_e32 v10, v6
	v_mad_u64_u32 v[17:18], null, s9, v98, v[7:8]
	ds_read_b128 v[4:7], v25 offset:272
	s_waitcnt lgkmcnt(1)
	global_store_dwordx4 v[15:16], v[0:3], off
	v_lshlrev_b64 v[1:2], 4, v[9:10]
	v_mov_b32_e32 v0, v14
	v_mad_u64_u32 v[15:16], null, s8, v95, 0
	v_mov_b32_e32 v12, v17
	v_mad_u64_u32 v[8:9], null, s9, v97, v[0:1]
	v_add_co_u32 v17, vcc_lo, v26, v1
	v_add_co_ci_u32_e32 v18, vcc_lo, v27, v2, vcc_lo
	ds_read_b128 v[0:3], v25 offset:544
	v_lshlrev_b64 v[19:20], 4, v[11:12]
	v_mov_b32_e32 v14, v8
	ds_read_b128 v[8:11], v25 offset:816
	v_mov_b32_e32 v12, v16
	v_mov_b32_e32 v16, v22
	v_lshlrev_b64 v[13:14], 4, v[13:14]
	v_add_co_u32 v19, vcc_lo, v26, v19
	v_add_co_ci_u32_e32 v20, vcc_lo, v27, v20, vcc_lo
	v_mad_u64_u32 v[22:23], null, s9, v95, v[12:13]
	v_mad_u64_u32 v[23:24], null, s9, v96, v[16:17]
	v_add_co_u32 v12, vcc_lo, v26, v13
	v_add_co_ci_u32_e32 v13, vcc_lo, v27, v14, vcc_lo
	v_mov_b32_e32 v16, v22
	s_waitcnt lgkmcnt(2)
	global_store_dwordx4 v[17:18], v[4:7], off
	s_waitcnt lgkmcnt(1)
	global_store_dwordx4 v[19:20], v[0:3], off
	;; [unrolled: 2-line block ×3, first 2 shown]
	v_mad_u64_u32 v[8:9], null, s8, v94, 0
	ds_read_b128 v[0:3], v25 offset:1088
	ds_read_b128 v[4:7], v25 offset:1360
	v_lshlrev_b64 v[10:11], 4, v[15:16]
	v_mad_u64_u32 v[14:15], null, s8, v93, 0
	v_mov_b32_e32 v22, v23
	v_add_co_u32 v10, vcc_lo, v26, v10
	v_lshlrev_b64 v[12:13], 4, v[21:22]
	v_add_co_ci_u32_e32 v11, vcc_lo, v27, v11, vcc_lo
	v_mad_u64_u32 v[16:17], null, s9, v94, v[9:10]
	v_mov_b32_e32 v9, v15
	v_add_co_u32 v12, vcc_lo, v26, v12
	v_add_co_ci_u32_e32 v13, vcc_lo, v27, v13, vcc_lo
	v_mad_u64_u32 v[17:18], null, s9, v93, v[9:10]
	v_mad_u64_u32 v[18:19], null, s8, v92, 0
	v_mov_b32_e32 v9, v16
	s_waitcnt lgkmcnt(1)
	global_store_dwordx4 v[10:11], v[0:3], off
	s_waitcnt lgkmcnt(0)
	global_store_dwordx4 v[12:13], v[4:7], off
	ds_read_b128 v[0:3], v25 offset:1632
	ds_read_b128 v[4:7], v25 offset:1904
	v_mad_u64_u32 v[12:13], null, s8, v91, 0
	v_lshlrev_b64 v[8:9], 4, v[8:9]
	v_mov_b32_e32 v10, v19
	v_mov_b32_e32 v15, v17
	v_mad_u64_u32 v[10:11], null, s9, v92, v[10:11]
	v_lshlrev_b64 v[14:15], 4, v[14:15]
	v_add_co_u32 v16, vcc_lo, v26, v8
	v_mov_b32_e32 v8, v13
	v_add_co_ci_u32_e32 v17, vcc_lo, v27, v9, vcc_lo
	v_mov_b32_e32 v19, v10
	v_add_co_u32 v13, vcc_lo, v26, v14
	v_mad_u64_u32 v[20:21], null, s9, v91, v[8:9]
	ds_read_b128 v[8:11], v25 offset:2176
	v_add_co_ci_u32_e32 v14, vcc_lo, v27, v15, vcc_lo
	v_mad_u64_u32 v[21:22], null, s8, v90, 0
	s_waitcnt lgkmcnt(2)
	global_store_dwordx4 v[16:17], v[0:3], off
	s_waitcnt lgkmcnt(1)
	global_store_dwordx4 v[13:14], v[4:7], off
	v_lshlrev_b64 v[4:5], 4, v[18:19]
	ds_read_b128 v[0:3], v25 offset:2448
	v_mov_b32_e32 v13, v20
	v_mad_u64_u32 v[14:15], null, s8, v89, 0
	v_mov_b32_e32 v6, v22
	v_add_co_u32 v4, vcc_lo, v26, v4
	v_add_co_ci_u32_e32 v5, vcc_lo, v27, v5, vcc_lo
	v_lshlrev_b64 v[12:13], 4, v[12:13]
	v_mad_u64_u32 v[6:7], null, s9, v90, v[6:7]
	s_waitcnt lgkmcnt(1)
	global_store_dwordx4 v[4:5], v[8:11], off
	v_mov_b32_e32 v4, v15
	v_add_co_u32 v7, vcc_lo, v26, v12
	v_add_co_ci_u32_e32 v8, vcc_lo, v27, v13, vcc_lo
	v_mad_u64_u32 v[12:13], null, s8, v88, 0
	v_mad_u64_u32 v[4:5], null, s9, v89, v[4:5]
	s_waitcnt lgkmcnt(0)
	global_store_dwordx4 v[7:8], v[0:3], off
	ds_read_b128 v[0:3], v25 offset:2720
	v_mov_b32_e32 v22, v6
	v_mov_b32_e32 v10, v13
	;; [unrolled: 1-line block ×3, first 2 shown]
	ds_read_b128 v[4:7], v25 offset:2992
	v_lshlrev_b64 v[8:9], 4, v[21:22]
	v_mad_u64_u32 v[18:19], null, s9, v88, v[10:11]
	v_lshlrev_b64 v[13:14], 4, v[14:15]
	v_mad_u64_u32 v[19:20], null, s8, v87, 0
	v_add_co_u32 v16, vcc_lo, v26, v8
	v_add_co_ci_u32_e32 v17, vcc_lo, v27, v9, vcc_lo
	v_add_co_u32 v21, vcc_lo, v26, v13
	v_mov_b32_e32 v13, v18
	ds_read_b128 v[8:11], v25 offset:3264
	s_waitcnt lgkmcnt(2)
	global_store_dwordx4 v[16:17], v[0:3], off
	v_add_co_ci_u32_e32 v22, vcc_lo, v27, v14, vcc_lo
	v_lshlrev_b64 v[1:2], 4, v[12:13]
	v_mov_b32_e32 v0, v20
	v_mad_u64_u32 v[14:15], null, s8, v86, 0
	s_waitcnt lgkmcnt(1)
	global_store_dwordx4 v[21:22], v[4:7], off
	v_mad_u64_u32 v[16:17], null, s8, v84, 0
	v_mad_u64_u32 v[4:5], null, s9, v87, v[0:1]
	;; [unrolled: 1-line block ×3, first 2 shown]
	v_add_co_u32 v12, vcc_lo, v26, v1
	v_add_co_ci_u32_e32 v13, vcc_lo, v27, v2, vcc_lo
	ds_read_b128 v[0:3], v25 offset:3536
	v_mov_b32_e32 v20, v4
	v_mov_b32_e32 v4, v6
	s_waitcnt lgkmcnt(1)
	global_store_dwordx4 v[12:13], v[8:11], off
	v_mov_b32_e32 v6, v15
	v_lshlrev_b64 v[7:8], 4, v[19:20]
	v_mad_u64_u32 v[9:10], null, s9, v85, v[4:5]
	v_mov_b32_e32 v4, v17
	v_mad_u64_u32 v[10:11], null, s9, v86, v[6:7]
	v_mad_u64_u32 v[20:21], null, s9, v84, v[4:5]
	v_mov_b32_e32 v6, v9
	v_add_co_u32 v18, vcc_lo, v26, v7
	v_add_co_ci_u32_e32 v19, vcc_lo, v27, v8, vcc_lo
	v_mov_b32_e32 v15, v10
	v_lshlrev_b64 v[21:22], 4, v[5:6]
	ds_read_b128 v[4:7], v25 offset:3808
	ds_read_b128 v[8:11], v25 offset:4080
	v_mov_b32_e32 v17, v20
	v_lshlrev_b64 v[23:24], 4, v[14:15]
	ds_read_b128 v[12:15], v25 offset:4352
	v_add_co_u32 v20, vcc_lo, v26, v21
	v_lshlrev_b64 v[16:17], 4, v[16:17]
	v_add_co_ci_u32_e32 v21, vcc_lo, v27, v22, vcc_lo
	v_add_co_u32 v22, vcc_lo, v26, v23
	v_add_co_ci_u32_e32 v23, vcc_lo, v27, v24, vcc_lo
	v_add_co_u32 v16, vcc_lo, v26, v16
	v_add_co_ci_u32_e32 v17, vcc_lo, v27, v17, vcc_lo
	s_waitcnt lgkmcnt(3)
	global_store_dwordx4 v[18:19], v[0:3], off
	s_waitcnt lgkmcnt(2)
	global_store_dwordx4 v[20:21], v[4:7], off
	;; [unrolled: 2-line block ×4, first 2 shown]
.LBB0_16:
	s_endpgm
	.section	.rodata,"a",@progbits
	.p2align	6, 0x0
	.amdhsa_kernel fft_rtc_fwd_len289_factors_17_17_wgs_119_tpt_17_dp_op_CI_CI_sbcc_twdbase8_2step
		.amdhsa_group_segment_fixed_size 0
		.amdhsa_private_segment_fixed_size 0
		.amdhsa_kernarg_size 112
		.amdhsa_user_sgpr_count 6
		.amdhsa_user_sgpr_private_segment_buffer 1
		.amdhsa_user_sgpr_dispatch_ptr 0
		.amdhsa_user_sgpr_queue_ptr 0
		.amdhsa_user_sgpr_kernarg_segment_ptr 1
		.amdhsa_user_sgpr_dispatch_id 0
		.amdhsa_user_sgpr_flat_scratch_init 0
		.amdhsa_user_sgpr_private_segment_size 0
		.amdhsa_wavefront_size32 1
		.amdhsa_uses_dynamic_stack 0
		.amdhsa_system_sgpr_private_segment_wavefront_offset 0
		.amdhsa_system_sgpr_workgroup_id_x 1
		.amdhsa_system_sgpr_workgroup_id_y 0
		.amdhsa_system_sgpr_workgroup_id_z 0
		.amdhsa_system_sgpr_workgroup_info 0
		.amdhsa_system_vgpr_workitem_id 0
		.amdhsa_next_free_vgpr 157
		.amdhsa_next_free_sgpr 66
		.amdhsa_reserve_vcc 1
		.amdhsa_reserve_flat_scratch 0
		.amdhsa_float_round_mode_32 0
		.amdhsa_float_round_mode_16_64 0
		.amdhsa_float_denorm_mode_32 3
		.amdhsa_float_denorm_mode_16_64 3
		.amdhsa_dx10_clamp 1
		.amdhsa_ieee_mode 1
		.amdhsa_fp16_overflow 0
		.amdhsa_workgroup_processor_mode 1
		.amdhsa_memory_ordered 1
		.amdhsa_forward_progress 0
		.amdhsa_shared_vgpr_count 0
		.amdhsa_exception_fp_ieee_invalid_op 0
		.amdhsa_exception_fp_denorm_src 0
		.amdhsa_exception_fp_ieee_div_zero 0
		.amdhsa_exception_fp_ieee_overflow 0
		.amdhsa_exception_fp_ieee_underflow 0
		.amdhsa_exception_fp_ieee_inexact 0
		.amdhsa_exception_int_div_zero 0
	.end_amdhsa_kernel
	.text
.Lfunc_end0:
	.size	fft_rtc_fwd_len289_factors_17_17_wgs_119_tpt_17_dp_op_CI_CI_sbcc_twdbase8_2step, .Lfunc_end0-fft_rtc_fwd_len289_factors_17_17_wgs_119_tpt_17_dp_op_CI_CI_sbcc_twdbase8_2step
                                        ; -- End function
	.section	.AMDGPU.csdata,"",@progbits
; Kernel info:
; codeLenInByte = 19708
; NumSgprs: 68
; NumVgprs: 157
; ScratchSize: 0
; MemoryBound: 0
; FloatMode: 240
; IeeeMode: 1
; LDSByteSize: 0 bytes/workgroup (compile time only)
; SGPRBlocks: 8
; VGPRBlocks: 19
; NumSGPRsForWavesPerEU: 68
; NumVGPRsForWavesPerEU: 157
; Occupancy: 6
; WaveLimiterHint : 1
; COMPUTE_PGM_RSRC2:SCRATCH_EN: 0
; COMPUTE_PGM_RSRC2:USER_SGPR: 6
; COMPUTE_PGM_RSRC2:TRAP_HANDLER: 0
; COMPUTE_PGM_RSRC2:TGID_X_EN: 1
; COMPUTE_PGM_RSRC2:TGID_Y_EN: 0
; COMPUTE_PGM_RSRC2:TGID_Z_EN: 0
; COMPUTE_PGM_RSRC2:TIDIG_COMP_CNT: 0
	.text
	.p2alignl 6, 3214868480
	.fill 48, 4, 3214868480
	.type	__hip_cuid_fbfe0639f7cf07b8,@object ; @__hip_cuid_fbfe0639f7cf07b8
	.section	.bss,"aw",@nobits
	.globl	__hip_cuid_fbfe0639f7cf07b8
__hip_cuid_fbfe0639f7cf07b8:
	.byte	0                               ; 0x0
	.size	__hip_cuid_fbfe0639f7cf07b8, 1

	.ident	"AMD clang version 19.0.0git (https://github.com/RadeonOpenCompute/llvm-project roc-6.4.0 25133 c7fe45cf4b819c5991fe208aaa96edf142730f1d)"
	.section	".note.GNU-stack","",@progbits
	.addrsig
	.addrsig_sym __hip_cuid_fbfe0639f7cf07b8
	.amdgpu_metadata
---
amdhsa.kernels:
  - .args:
      - .actual_access:  read_only
        .address_space:  global
        .offset:         0
        .size:           8
        .value_kind:     global_buffer
      - .address_space:  global
        .offset:         8
        .size:           8
        .value_kind:     global_buffer
      - .offset:         16
        .size:           8
        .value_kind:     by_value
      - .actual_access:  read_only
        .address_space:  global
        .offset:         24
        .size:           8
        .value_kind:     global_buffer
      - .actual_access:  read_only
        .address_space:  global
        .offset:         32
        .size:           8
        .value_kind:     global_buffer
      - .actual_access:  read_only
        .address_space:  global
        .offset:         40
        .size:           8
        .value_kind:     global_buffer
      - .offset:         48
        .size:           8
        .value_kind:     by_value
      - .actual_access:  read_only
        .address_space:  global
        .offset:         56
        .size:           8
        .value_kind:     global_buffer
      - .actual_access:  read_only
        .address_space:  global
        .offset:         64
        .size:           8
        .value_kind:     global_buffer
      - .offset:         72
        .size:           4
        .value_kind:     by_value
      - .actual_access:  read_only
        .address_space:  global
        .offset:         80
        .size:           8
        .value_kind:     global_buffer
      - .actual_access:  read_only
        .address_space:  global
        .offset:         88
        .size:           8
        .value_kind:     global_buffer
      - .actual_access:  read_only
        .address_space:  global
        .offset:         96
        .size:           8
        .value_kind:     global_buffer
      - .actual_access:  write_only
        .address_space:  global
        .offset:         104
        .size:           8
        .value_kind:     global_buffer
    .group_segment_fixed_size: 0
    .kernarg_segment_align: 8
    .kernarg_segment_size: 112
    .language:       OpenCL C
    .language_version:
      - 2
      - 0
    .max_flat_workgroup_size: 119
    .name:           fft_rtc_fwd_len289_factors_17_17_wgs_119_tpt_17_dp_op_CI_CI_sbcc_twdbase8_2step
    .private_segment_fixed_size: 0
    .sgpr_count:     68
    .sgpr_spill_count: 0
    .symbol:         fft_rtc_fwd_len289_factors_17_17_wgs_119_tpt_17_dp_op_CI_CI_sbcc_twdbase8_2step.kd
    .uniform_work_group_size: 1
    .uses_dynamic_stack: false
    .vgpr_count:     157
    .vgpr_spill_count: 0
    .wavefront_size: 32
    .workgroup_processor_mode: 1
amdhsa.target:   amdgcn-amd-amdhsa--gfx1030
amdhsa.version:
  - 1
  - 2
...

	.end_amdgpu_metadata
